;; amdgpu-corpus repo=ROCm/rocFFT kind=compiled arch=gfx950 opt=O3
	.text
	.amdgcn_target "amdgcn-amd-amdhsa--gfx950"
	.amdhsa_code_object_version 6
	.protected	bluestein_single_fwd_len650_dim1_dp_op_CI_CI ; -- Begin function bluestein_single_fwd_len650_dim1_dp_op_CI_CI
	.globl	bluestein_single_fwd_len650_dim1_dp_op_CI_CI
	.p2align	8
	.type	bluestein_single_fwd_len650_dim1_dp_op_CI_CI,@function
bluestein_single_fwd_len650_dim1_dp_op_CI_CI: ; @bluestein_single_fwd_len650_dim1_dp_op_CI_CI
; %bb.0:
	s_load_dwordx4 s[16:19], s[0:1], 0x28
	v_mul_u32_u24_e32 v1, 0x3f1, v0
	v_lshrrev_b32_e32 v2, 16, v1
	v_mad_u64_u32 v[172:173], s[2:3], s2, 3, v[2:3]
	v_mov_b32_e32 v173, 0
	s_waitcnt lgkmcnt(0)
	v_cmp_gt_u64_e32 vcc, s[16:17], v[172:173]
	s_and_saveexec_b64 s[2:3], vcc
	s_cbranch_execz .LBB0_10
; %bb.1:
	s_load_dwordx4 s[4:7], s[0:1], 0x18
	s_load_dwordx4 s[8:11], s[0:1], 0x0
	v_mul_lo_u16_e32 v1, 0x41, v2
	v_sub_u16_e32 v206, v0, v1
	v_mov_b32_e32 v4, s18
	s_waitcnt lgkmcnt(0)
	s_load_dwordx4 s[12:15], s[4:5], 0x0
	v_mov_b32_e32 v5, s19
	v_mov_b32_e32 v28, 0x410
	v_lshlrev_b32_e32 v174, 4, v206
	v_mov_b32_e32 v175, v173
	s_waitcnt lgkmcnt(0)
	v_mad_u64_u32 v[0:1], s[2:3], s14, v172, 0
	v_mov_b32_e32 v2, v1
	v_mad_u64_u32 v[2:3], s[2:3], s15, v172, v[2:3]
	v_mov_b32_e32 v1, v2
	v_mad_u64_u32 v[2:3], s[2:3], s12, v206, 0
	v_mov_b32_e32 v6, v3
	v_mad_u64_u32 v[6:7], s[2:3], s13, v206, v[6:7]
	v_mov_b32_e32 v3, v6
	v_lshl_add_u64 v[0:1], v[0:1], 4, v[4:5]
	v_lshl_add_u64 v[2:3], v[2:3], 4, v[0:1]
	global_load_dwordx4 v[40:43], v[2:3], off
	v_mad_u64_u32 v[2:3], s[2:3], s12, v28, v[2:3]
	s_mul_i32 s2, s13, 0x410
	s_nop 0
	v_add_u32_e32 v3, s2, v3
	v_mad_u64_u32 v[4:5], s[4:5], s12, v28, v[2:3]
	global_load_dwordx4 v[68:71], v174, s[8:9]
	global_load_dwordx4 v[238:241], v174, s[8:9] offset:1040
	v_add_u32_e32 v5, s2, v5
	v_mad_u64_u32 v[10:11], s[4:5], s12, v28, v[4:5]
	global_load_dwordx4 v[48:51], v[2:3], off
	global_load_dwordx4 v[44:47], v[4:5], off
	v_add_u32_e32 v11, s2, v11
	global_load_dwordx4 v[64:67], v174, s[8:9] offset:2080
	global_load_dwordx4 v[34:37], v174, s[8:9] offset:3120
	v_mad_u64_u32 v[12:13], s[4:5], s12, v28, v[10:11]
	v_add_u32_e32 v13, s2, v13
	global_load_dwordx4 v[2:5], v[10:11], off
	global_load_dwordx4 v[6:9], v[12:13], off
	v_lshl_add_u64 v[0:1], s[8:9], 0, v[174:175]
	s_movk_i32 s3, 0x1000
	v_mad_u64_u32 v[14:15], s[4:5], s12, v28, v[12:13]
	v_add_co_u32_e32 v22, vcc, s3, v0
	v_add_u32_e32 v15, s2, v15
	s_nop 0
	v_addc_co_u32_e32 v23, vcc, 0, v1, vcc
	global_load_dwordx4 v[10:13], v[14:15], off
	global_load_dwordx4 v[76:79], v[22:23], off offset:64
	global_load_dwordx4 v[56:59], v[22:23], off offset:1104
	v_mad_u64_u32 v[18:19], s[4:5], s12, v28, v[14:15]
	v_add_u32_e32 v19, s2, v19
	v_mad_u64_u32 v[24:25], s[4:5], s12, v28, v[18:19]
	global_load_dwordx4 v[14:17], v[18:19], off
	v_add_u32_e32 v25, s2, v25
	global_load_dwordx4 v[18:21], v[24:25], off
	global_load_dwordx4 v[72:75], v[22:23], off offset:2144
	global_load_dwordx4 v[52:55], v[22:23], off offset:3184
	s_movk_i32 s3, 0x2000
	v_mad_u64_u32 v[26:27], s[4:5], s12, v28, v[24:25]
	v_add_co_u32_e32 v0, vcc, s3, v0
	v_add_u32_e32 v27, s2, v27
	s_nop 0
	v_addc_co_u32_e32 v1, vcc, 0, v1, vcc
	global_load_dwordx4 v[22:25], v[26:27], off
	global_load_dwordx4 v[208:211], v[0:1], off offset:128
	v_mad_u64_u32 v[30:31], s[4:5], s12, v28, v[26:27]
	v_add_u32_e32 v31, s2, v31
	global_load_dwordx4 v[60:63], v[0:1], off offset:1168
	global_load_dwordx4 v[26:29], v[30:31], off
	s_mov_b32 s2, 0xaaaaaaab
	v_mul_hi_u32 v0, v172, s2
	v_lshrrev_b32_e32 v0, 1, v0
	v_lshl_add_u32 v0, v0, 1, v0
	v_sub_u32_e32 v0, v172, v0
	v_mul_u32_u24_e32 v0, 0x28a, v0
	v_lshlrev_b32_e32 v207, 4, v0
	v_add_u32_e32 v173, v174, v207
	s_load_dwordx4 s[4:7], s[6:7], 0x0
	s_mov_b32 s12, 0x134454ff
	s_mov_b32 s13, 0x3fee6f0e
	;; [unrolled: 1-line block ×12, first 2 shown]
	v_cmp_gt_u16_e32 vcc, 50, v206
                                        ; implicit-def: $vgpr160_vgpr161
                                        ; implicit-def: $vgpr164_vgpr165
                                        ; implicit-def: $vgpr168_vgpr169
	s_waitcnt vmcnt(18)
	v_accvgpr_write_b32 a28, v68
	v_mul_f64 v[0:1], v[40:41], v[70:71]
	v_mul_f64 v[30:31], v[42:43], v[70:71]
	v_fma_f64 v[32:33], v[42:43], v[68:69], -v[0:1]
	v_fmac_f64_e32 v[30:31], v[40:41], v[68:69]
	ds_write_b128 v173, v[30:33]
	s_waitcnt vmcnt(16)
	v_mul_f64 v[30:31], v[50:51], v[240:241]
	v_mul_f64 v[0:1], v[48:49], v[240:241]
	v_fmac_f64_e32 v[30:31], v[48:49], v[238:239]
	v_fma_f64 v[32:33], v[50:51], v[238:239], -v[0:1]
	s_waitcnt vmcnt(14)
	v_mul_f64 v[0:1], v[44:45], v[66:67]
	ds_write_b128 v173, v[30:33] offset:1040
	v_fma_f64 v[32:33], v[46:47], v[64:65], -v[0:1]
	s_waitcnt vmcnt(12)
	v_mul_f64 v[0:1], v[4:5], v[36:37]
	v_fmac_f64_e32 v[0:1], v[2:3], v[34:35]
	v_mul_f64 v[2:3], v[2:3], v[36:37]
	v_fma_f64 v[2:3], v[4:5], v[34:35], -v[2:3]
	ds_write_b128 v173, v[0:3] offset:3120
	v_mul_f64 v[30:31], v[46:47], v[66:67]
	v_fmac_f64_e32 v[30:31], v[44:45], v[64:65]
	s_waitcnt vmcnt(9)
	v_mul_f64 v[0:1], v[8:9], v[78:79]
	v_mul_f64 v[2:3], v[6:7], v[78:79]
	v_fmac_f64_e32 v[0:1], v[6:7], v[76:77]
	v_fma_f64 v[2:3], v[8:9], v[76:77], -v[2:3]
	ds_write_b128 v173, v[0:3] offset:4160
	s_waitcnt vmcnt(8)
	v_mul_f64 v[0:1], v[12:13], v[58:59]
	v_mul_f64 v[2:3], v[10:11], v[58:59]
	v_fmac_f64_e32 v[0:1], v[10:11], v[56:57]
	v_fma_f64 v[2:3], v[12:13], v[56:57], -v[2:3]
	ds_write_b128 v173, v[0:3] offset:5200
	;; [unrolled: 6-line block ×5, first 2 shown]
	s_waitcnt vmcnt(0)
	v_mul_f64 v[0:1], v[28:29], v[62:63]
	v_mul_f64 v[2:3], v[26:27], v[62:63]
	v_accvgpr_write_b32 a12, v52
	v_fmac_f64_e32 v[0:1], v[26:27], v[60:61]
	v_fma_f64 v[2:3], v[28:29], v[60:61], -v[2:3]
	ds_write_b128 v173, v[30:33] offset:2080
	v_accvgpr_write_b32 a13, v53
	v_accvgpr_write_b32 a14, v54
	;; [unrolled: 1-line block ×3, first 2 shown]
	ds_write_b128 v173, v[0:3] offset:9360
	s_waitcnt lgkmcnt(0)
	s_barrier
	ds_read_b128 v[40:43], v173 offset:3120
	ds_read_b128 v[44:47], v173 offset:5200
	;; [unrolled: 1-line block ×5, first 2 shown]
	v_accvgpr_write_b32 a8, v34
	v_accvgpr_write_b32 a20, v60
	s_waitcnt lgkmcnt(2)
	v_add_f64 v[20:21], v[44:45], v[48:49]
	s_waitcnt lgkmcnt(1)
	v_add_f64 v[32:33], v[40:41], v[52:53]
	v_accvgpr_write_b32 a9, v35
	v_accvgpr_write_b32 a10, v36
	;; [unrolled: 1-line block ×7, first 2 shown]
	s_waitcnt lgkmcnt(0)
	v_add_f64 v[24:25], v[0:1], v[40:41]
	v_fma_f64 v[26:27], -0.5, v[20:21], v[0:1]
	v_add_f64 v[30:31], v[46:47], -v[50:51]
	v_fmac_f64_e32 v[0:1], -0.5, v[32:33]
	v_add_f64 v[34:35], v[44:45], -v[40:41]
	v_add_f64 v[36:37], v[48:49], -v[52:53]
	v_add_f64 v[38:39], v[46:47], v[50:51]
	v_add_f64 v[60:61], v[42:43], v[54:55]
	v_accvgpr_write_b32 a17, v57
	v_accvgpr_write_b32 a18, v58
	;; [unrolled: 1-line block ×3, first 2 shown]
	ds_read_b128 v[4:7], v173
	ds_read_b128 v[8:11], v173 offset:2080
	ds_read_b128 v[12:15], v173 offset:4160
	;; [unrolled: 1-line block ×3, first 2 shown]
	v_add_f64 v[28:29], v[42:43], -v[54:55]
	v_fma_f64 v[32:33], s[16:17], v[30:31], v[0:1]
	v_add_f64 v[34:35], v[34:35], v[36:37]
	v_fmac_f64_e32 v[0:1], s[12:13], v[30:31]
	v_add_f64 v[36:37], v[2:3], v[42:43]
	v_fma_f64 v[38:39], -0.5, v[38:39], v[2:3]
	v_add_f64 v[58:59], v[44:45], -v[48:49]
	v_fmac_f64_e32 v[2:3], -0.5, v[60:61]
	v_add_f64 v[60:61], v[46:47], -v[42:43]
	v_add_f64 v[62:63], v[50:51], -v[54:55]
	ds_read_b128 v[20:23], v173 offset:8320
	v_fmac_f64_e32 v[0:1], s[18:19], v[28:29]
	v_add_f64 v[56:57], v[40:41], -v[52:53]
	v_add_f64 v[60:61], v[60:61], v[62:63]
	v_fma_f64 v[62:63], s[12:13], v[58:59], v[2:3]
	v_fmac_f64_e32 v[2:3], s[16:17], v[58:59]
	v_accvgpr_write_b32 a24, v64
	v_fmac_f64_e32 v[0:1], s[14:15], v[34:35]
	v_fmac_f64_e32 v[2:3], s[2:3], v[56:57]
	v_accvgpr_write_b32 a25, v65
	v_accvgpr_write_b32 a26, v66
	v_accvgpr_write_b32 a27, v67
	v_fmac_f64_e32 v[2:3], s[14:15], v[60:61]
	v_mul_f64 v[64:65], v[0:1], s[14:15]
	v_fma_f64 v[64:65], v[2:3], s[12:13], -v[64:65]
	v_mul_f64 v[2:3], v[2:3], s[14:15]
	v_fma_f64 v[66:67], v[0:1], s[16:17], -v[2:3]
	s_waitcnt lgkmcnt(1)
	v_add_f64 v[0:1], v[12:13], v[16:17]
	v_accvgpr_write_b32 a29, v69
	v_accvgpr_write_b32 a30, v70
	v_accvgpr_write_b32 a31, v71
	v_fma_f64 v[68:69], -0.5, v[0:1], v[4:5]
	s_waitcnt lgkmcnt(0)
	v_add_f64 v[0:1], v[8:9], v[20:21]
	v_accvgpr_write_b32 a32, v72
	v_add_f64 v[70:71], v[4:5], v[8:9]
	v_fmac_f64_e32 v[4:5], -0.5, v[0:1]
	v_add_f64 v[0:1], v[12:13], -v[8:9]
	v_add_f64 v[2:3], v[16:17], -v[20:21]
	v_accvgpr_write_b32 a36, v76
	v_accvgpr_write_b32 a33, v73
	;; [unrolled: 1-line block ×4, first 2 shown]
	v_add_f64 v[72:73], v[0:1], v[2:3]
	v_add_f64 v[0:1], v[14:15], v[18:19]
	v_accvgpr_write_b32 a37, v77
	v_accvgpr_write_b32 a38, v78
	v_accvgpr_write_b32 a39, v79
	v_fma_f64 v[74:75], -0.5, v[0:1], v[6:7]
	v_add_f64 v[76:77], v[6:7], v[10:11]
	v_add_f64 v[0:1], v[10:11], v[22:23]
	v_add_f64 v[86:87], v[12:13], -v[16:17]
	v_add_f64 v[90:91], v[8:9], -v[20:21]
	;; [unrolled: 1-line block ×3, first 2 shown]
	v_add_f64 v[12:13], v[70:71], v[12:13]
	v_fmac_f64_e32 v[6:7], -0.5, v[0:1]
	v_add_f64 v[0:1], v[14:15], -v[10:11]
	v_add_f64 v[80:81], v[14:15], -v[18:19]
	;; [unrolled: 1-line block ×4, first 2 shown]
	v_add_f64 v[14:15], v[76:77], v[14:15]
	v_add_f64 v[12:13], v[12:13], v[16:17]
	;; [unrolled: 1-line block ×3, first 2 shown]
	v_add_f64 v[16:17], v[20:21], -v[16:17]
	v_add_f64 v[12:13], v[12:13], v[20:21]
	v_add_f64 v[20:21], v[40:41], -v[44:45]
	v_add_f64 v[24:25], v[24:25], v[44:45]
	v_fma_f64 v[44:45], s[12:13], v[84:85], v[68:69]
	v_fmac_f64_e32 v[68:69], s[16:17], v[84:85]
	v_add_f64 v[2:3], v[18:19], -v[22:23]
	v_add_f64 v[18:19], v[22:23], -v[18:19]
	v_add_f64 v[14:15], v[14:15], v[22:23]
	v_add_f64 v[22:23], v[42:43], -v[46:47]
	v_add_f64 v[36:37], v[36:37], v[46:47]
	v_add_f64 v[8:9], v[8:9], v[16:17]
	v_fmac_f64_e32 v[44:45], s[2:3], v[80:81]
	v_fmac_f64_e32 v[68:69], s[18:19], v[80:81]
	v_fma_f64 v[46:47], s[16:17], v[90:91], v[74:75]
	v_fmac_f64_e32 v[74:75], s[12:13], v[90:91]
	v_add_f64 v[40:41], v[52:53], -v[48:49]
	v_fmac_f64_e32 v[44:45], s[14:15], v[8:9]
	v_fmac_f64_e32 v[68:69], s[14:15], v[8:9]
	v_add_f64 v[8:9], v[10:11], v[18:19]
	v_fmac_f64_e32 v[46:47], s[18:19], v[86:87]
	v_fmac_f64_e32 v[74:75], s[2:3], v[86:87]
	v_fma_f64 v[10:11], s[12:13], v[28:29], v[26:27]
	v_fmac_f64_e32 v[26:27], s[16:17], v[28:29]
	v_add_f64 v[42:43], v[54:55], -v[50:51]
	v_fmac_f64_e32 v[46:47], s[14:15], v[8:9]
	v_fmac_f64_e32 v[74:75], s[14:15], v[8:9]
	v_add_f64 v[8:9], v[20:21], v[40:41]
	v_fmac_f64_e32 v[10:11], s[2:3], v[30:31]
	v_fmac_f64_e32 v[26:27], s[18:19], v[30:31]
	v_fma_f64 v[16:17], s[16:17], v[56:57], v[38:39]
	v_fmac_f64_e32 v[38:39], s[12:13], v[56:57]
	v_fmac_f64_e32 v[10:11], s[14:15], v[8:9]
	v_fmac_f64_e32 v[26:27], s[14:15], v[8:9]
	v_add_f64 v[8:9], v[22:23], v[42:43]
	v_fmac_f64_e32 v[16:17], s[18:19], v[58:59]
	v_fmac_f64_e32 v[38:39], s[2:3], v[58:59]
	;; [unrolled: 1-line block ×3, first 2 shown]
	v_fma_f64 v[82:83], s[16:17], v[80:81], v[4:5]
	v_fmac_f64_e32 v[4:5], s[12:13], v[80:81]
	v_add_f64 v[36:37], v[36:37], v[50:51]
	v_fmac_f64_e32 v[32:33], s[2:3], v[28:29]
	v_fmac_f64_e32 v[16:17], s[14:15], v[8:9]
	;; [unrolled: 1-line block ×4, first 2 shown]
	v_mul_f64 v[8:9], v[26:27], s[20:21]
	v_fmac_f64_e32 v[4:5], s[18:19], v[84:85]
	v_fma_f64 v[88:89], s[12:13], v[86:87], v[6:7]
	v_fmac_f64_e32 v[6:7], s[16:17], v[86:87]
	v_add_f64 v[24:25], v[24:25], v[48:49]
	v_add_f64 v[36:37], v[36:37], v[54:55]
	v_fmac_f64_e32 v[32:33], s[14:15], v[34:35]
	v_mul_f64 v[28:29], v[62:63], s[12:13]
	v_fma_f64 v[40:41], v[38:39], s[2:3], -v[8:9]
	v_add_f64 v[78:79], v[0:1], v[2:3]
	v_fmac_f64_e32 v[4:5], s[14:15], v[72:73]
	v_fmac_f64_e32 v[6:7], s[2:3], v[90:91]
	v_add_f64 v[24:25], v[24:25], v[52:53]
	v_fmac_f64_e32 v[82:83], s[2:3], v[84:85]
	v_fmac_f64_e32 v[88:89], s[18:19], v[90:91]
	v_mul_f64 v[20:21], v[10:11], s[20:21]
	v_fmac_f64_e32 v[28:29], s[14:15], v[32:33]
	v_mul_f64 v[22:23], v[10:11], s[18:19]
	v_mul_f64 v[30:31], v[32:33], s[16:17]
	;; [unrolled: 1-line block ×3, first 2 shown]
	v_add_f64 v[10:11], v[14:15], v[36:37]
	v_add_f64 v[14:15], v[14:15], -v[36:37]
	v_add_f64 v[32:33], v[68:69], v[40:41]
	v_add_f64 v[36:37], v[68:69], -v[40:41]
	v_mul_lo_u16_e32 v40, 10, v206
	v_fmac_f64_e32 v[6:7], s[14:15], v[78:79]
	v_add_f64 v[0:1], v[4:5], v[64:65]
	v_fmac_f64_e32 v[82:83], s[14:15], v[72:73]
	v_fmac_f64_e32 v[88:89], s[14:15], v[78:79]
	;; [unrolled: 1-line block ×5, first 2 shown]
	v_fma_f64 v[38:39], v[26:27], s[18:19], -v[8:9]
	v_add_f64 v[8:9], v[12:13], v[24:25]
	v_lshl_add_u32 v202, v40, 4, v207
	s_movk_i32 s20, 0xcd
	v_add_f64 v[2:3], v[6:7], v[66:67]
	v_add_f64 v[4:5], v[4:5], -v[64:65]
	v_add_f64 v[6:7], v[6:7], -v[66:67]
	;; [unrolled: 1-line block ×3, first 2 shown]
	v_add_f64 v[16:17], v[44:45], v[20:21]
	v_add_f64 v[18:19], v[46:47], v[22:23]
	v_add_f64 v[20:21], v[44:45], -v[20:21]
	v_add_f64 v[22:23], v[46:47], -v[22:23]
	v_add_f64 v[24:25], v[82:83], v[28:29]
	v_add_f64 v[26:27], v[88:89], v[30:31]
	v_add_f64 v[28:29], v[82:83], -v[28:29]
	v_add_f64 v[30:31], v[88:89], -v[30:31]
	v_add_f64 v[34:35], v[74:75], v[38:39]
	v_add_f64 v[38:39], v[74:75], -v[38:39]
	s_barrier
	ds_write_b128 v202, v[8:11]
	ds_write_b128 v202, v[16:19] offset:16
	ds_write_b128 v202, v[24:27] offset:32
	ds_write_b128 v202, v[0:3] offset:48
	ds_write_b128 v202, v[32:35] offset:64
	ds_write_b128 v202, v[12:15] offset:80
	ds_write_b128 v202, v[20:23] offset:96
	ds_write_b128 v202, v[28:31] offset:112
	ds_write_b128 v202, v[4:7] offset:128
	ds_write_b128 v202, v[36:39] offset:144
	v_mul_lo_u16_sdwa v0, v206, s20 dst_sel:DWORD dst_unused:UNUSED_PAD src0_sel:BYTE_0 src1_sel:DWORD
	v_lshrrev_b16_e32 v62, 11, v0
	v_mul_lo_u16_e32 v0, 10, v62
	v_sub_u16_e32 v63, v206, v0
	v_mov_b32_e32 v0, 6
	v_lshlrev_b32_sdwa v1, v0, v63 dst_sel:DWORD dst_unused:UNUSED_PAD src0_sel:DWORD src1_sel:BYTE_0
	s_waitcnt lgkmcnt(0)
	s_barrier
	global_load_dwordx4 v[48:51], v1, s[10:11]
	global_load_dwordx4 v[44:47], v1, s[10:11] offset:16
	global_load_dwordx4 v[40:43], v1, s[10:11] offset:32
	global_load_dwordx4 v[52:55], v1, s[10:11] offset:48
	v_add_u16_e32 v1, 0x41, v206
	v_mul_lo_u16_sdwa v2, v1, s20 dst_sel:DWORD dst_unused:UNUSED_PAD src0_sel:BYTE_0 src1_sel:DWORD
	v_lshrrev_b16_e32 v76, 11, v2
	v_mul_lo_u16_e32 v2, 10, v76
	v_sub_u16_e32 v77, v1, v2
	v_lshlrev_b32_sdwa v0, v0, v77 dst_sel:DWORD dst_unused:UNUSED_PAD src0_sel:DWORD src1_sel:BYTE_0
	global_load_dwordx4 v[56:59], v0, s[10:11]
	global_load_dwordx4 v[64:67], v0, s[10:11] offset:16
	global_load_dwordx4 v[68:71], v0, s[10:11] offset:32
	;; [unrolled: 1-line block ×3, first 2 shown]
	ds_read_b128 v[0:3], v173 offset:2080
	ds_read_b128 v[4:7], v173 offset:3120
	ds_read_b128 v[8:11], v173 offset:4160
	ds_read_b128 v[12:15], v173 offset:5200
	ds_read_b128 v[16:19], v173 offset:6240
	ds_read_b128 v[20:23], v173 offset:7280
	ds_read_b128 v[124:127], v173
	ds_read_b128 v[140:143], v173 offset:1040
	s_waitcnt vmcnt(7) lgkmcnt(7)
	v_mul_f64 v[24:25], v[2:3], v[50:51]
	v_fma_f64 v[24:25], v[0:1], v[48:49], -v[24:25]
	v_mul_f64 v[26:27], v[0:1], v[50:51]
	s_waitcnt vmcnt(6) lgkmcnt(5)
	v_mul_f64 v[0:1], v[10:11], v[46:47]
	v_fmac_f64_e32 v[26:27], v[2:3], v[48:49]
	v_fma_f64 v[28:29], v[8:9], v[44:45], -v[0:1]
	ds_read_b128 v[0:3], v173 offset:8320
	v_mul_f64 v[30:31], v[8:9], v[46:47]
	s_waitcnt vmcnt(5) lgkmcnt(4)
	v_mul_f64 v[8:9], v[18:19], v[42:43]
	v_fma_f64 v[32:33], v[16:17], v[40:41], -v[8:9]
	v_mul_f64 v[16:17], v[16:17], v[42:43]
	v_fmac_f64_e32 v[30:31], v[10:11], v[44:45]
	ds_read_b128 v[8:11], v173 offset:9360
	v_fmac_f64_e32 v[16:17], v[18:19], v[40:41]
	s_waitcnt vmcnt(4) lgkmcnt(1)
	v_mul_f64 v[18:19], v[2:3], v[54:55]
	v_fma_f64 v[18:19], v[0:1], v[52:53], -v[18:19]
	v_mul_f64 v[0:1], v[0:1], v[54:55]
	v_fmac_f64_e32 v[0:1], v[2:3], v[52:53]
	s_waitcnt vmcnt(3)
	v_mul_f64 v[2:3], v[6:7], v[58:59]
	v_fma_f64 v[2:3], v[4:5], v[56:57], -v[2:3]
	v_mul_f64 v[4:5], v[4:5], v[58:59]
	v_fmac_f64_e32 v[4:5], v[6:7], v[56:57]
	s_waitcnt vmcnt(2)
	;; [unrolled: 5-line block ×3, first 2 shown]
	v_mul_f64 v[14:15], v[22:23], v[70:71]
	v_fma_f64 v[14:15], v[20:21], v[68:69], -v[14:15]
	v_mul_f64 v[20:21], v[20:21], v[70:71]
	v_fmac_f64_e32 v[20:21], v[22:23], v[68:69]
	s_waitcnt vmcnt(0) lgkmcnt(0)
	v_mul_f64 v[22:23], v[10:11], v[74:75]
	v_fma_f64 v[22:23], v[8:9], v[72:73], -v[22:23]
	v_mul_f64 v[8:9], v[8:9], v[74:75]
	v_fmac_f64_e32 v[8:9], v[10:11], v[72:73]
	v_add_f64 v[10:11], v[24:25], -v[28:29]
	v_add_f64 v[34:35], v[18:19], -v[32:33]
	v_add_f64 v[10:11], v[10:11], v[34:35]
	v_add_f64 v[34:35], v[28:29], v[32:33]
	v_fma_f64 v[128:129], -0.5, v[34:35], v[124:125]
	v_add_f64 v[34:35], v[26:27], -v[0:1]
	v_add_f64 v[36:37], v[30:31], -v[16:17]
	v_fma_f64 v[120:121], s[12:13], v[34:35], v[128:129]
	v_fmac_f64_e32 v[128:129], s[16:17], v[34:35]
	v_fmac_f64_e32 v[120:121], s[2:3], v[36:37]
	;; [unrolled: 1-line block ×5, first 2 shown]
	v_add_f64 v[10:11], v[124:125], v[24:25]
	v_add_f64 v[10:11], v[10:11], v[28:29]
	;; [unrolled: 1-line block ×6, first 2 shown]
	v_fmac_f64_e32 v[124:125], -0.5, v[38:39]
	v_fma_f64 v[130:131], -0.5, v[10:11], v[126:127]
	v_add_f64 v[10:11], v[24:25], -v[18:19]
	v_add_f64 v[38:39], v[28:29], -v[24:25]
	v_add_f64 v[60:61], v[32:33], -v[18:19]
	v_fma_f64 v[136:137], s[16:17], v[36:37], v[124:125]
	v_fmac_f64_e32 v[124:125], s[12:13], v[36:37]
	v_add_f64 v[18:19], v[28:29], -v[32:33]
	v_add_f64 v[24:25], v[26:27], -v[30:31]
	;; [unrolled: 1-line block ×3, first 2 shown]
	v_fma_f64 v[122:123], s[16:17], v[10:11], v[130:131]
	v_fmac_f64_e32 v[130:131], s[12:13], v[10:11]
	v_fmac_f64_e32 v[136:137], s[2:3], v[34:35]
	;; [unrolled: 1-line block ×3, first 2 shown]
	v_add_f64 v[34:35], v[126:127], v[26:27]
	v_add_f64 v[24:25], v[24:25], v[28:29]
	v_fmac_f64_e32 v[122:123], s[18:19], v[18:19]
	v_fmac_f64_e32 v[130:131], s[2:3], v[18:19]
	v_add_f64 v[34:35], v[34:35], v[30:31]
	v_fmac_f64_e32 v[122:123], s[14:15], v[24:25]
	v_fmac_f64_e32 v[130:131], s[14:15], v[24:25]
	v_add_f64 v[24:25], v[26:27], v[0:1]
	v_add_f64 v[34:35], v[34:35], v[16:17]
	v_fmac_f64_e32 v[126:127], -0.5, v[24:25]
	v_add_f64 v[134:135], v[34:35], v[0:1]
	v_add_f64 v[24:25], v[30:31], -v[26:27]
	v_add_f64 v[0:1], v[16:17], -v[0:1]
	v_fma_f64 v[138:139], s[12:13], v[18:19], v[126:127]
	v_fmac_f64_e32 v[126:127], s[16:17], v[18:19]
	v_add_f64 v[0:1], v[24:25], v[0:1]
	v_fmac_f64_e32 v[138:139], s[18:19], v[10:11]
	v_fmac_f64_e32 v[126:127], s[2:3], v[10:11]
	;; [unrolled: 1-line block ×4, first 2 shown]
	v_add_f64 v[0:1], v[2:3], -v[6:7]
	v_add_f64 v[10:11], v[22:23], -v[14:15]
	v_add_f64 v[0:1], v[0:1], v[10:11]
	v_add_f64 v[10:11], v[6:7], v[14:15]
	v_fma_f64 v[148:149], -0.5, v[10:11], v[140:141]
	v_add_f64 v[10:11], v[4:5], -v[8:9]
	v_add_f64 v[16:17], v[12:13], -v[20:21]
	v_fma_f64 v[144:145], s[12:13], v[10:11], v[148:149]
	v_fmac_f64_e32 v[148:149], s[16:17], v[10:11]
	v_fmac_f64_e32 v[144:145], s[2:3], v[16:17]
	;; [unrolled: 1-line block ×3, first 2 shown]
	v_add_f64 v[18:19], v[2:3], v[22:23]
	v_fmac_f64_e32 v[144:145], s[14:15], v[0:1]
	v_fmac_f64_e32 v[148:149], s[14:15], v[0:1]
	v_add_f64 v[0:1], v[140:141], v[2:3]
	v_fmac_f64_e32 v[140:141], -0.5, v[18:19]
	v_fma_f64 v[152:153], s[16:17], v[16:17], v[140:141]
	v_fmac_f64_e32 v[140:141], s[12:13], v[16:17]
	v_add_f64 v[0:1], v[0:1], v[6:7]
	v_fmac_f64_e32 v[152:153], s[2:3], v[10:11]
	v_fmac_f64_e32 v[140:141], s[18:19], v[10:11]
	v_add_f64 v[0:1], v[0:1], v[14:15]
	v_add_f64 v[10:11], v[142:143], v[4:5]
	;; [unrolled: 1-line block ×6, first 2 shown]
	v_fma_f64 v[150:151], -0.5, v[0:1], v[142:143]
	v_add_f64 v[0:1], v[2:3], -v[22:23]
	v_add_f64 v[18:19], v[6:7], -v[2:3]
	v_add_f64 v[158:159], v[10:11], v[8:9]
	v_add_f64 v[2:3], v[6:7], -v[14:15]
	v_add_f64 v[6:7], v[4:5], -v[12:13]
	;; [unrolled: 1-line block ×3, first 2 shown]
	v_fma_f64 v[146:147], s[16:17], v[0:1], v[150:151]
	v_fmac_f64_e32 v[150:151], s[12:13], v[0:1]
	v_add_f64 v[6:7], v[6:7], v[10:11]
	v_fmac_f64_e32 v[146:147], s[18:19], v[2:3]
	v_fmac_f64_e32 v[150:151], s[2:3], v[2:3]
	;; [unrolled: 1-line block ×4, first 2 shown]
	v_add_f64 v[6:7], v[4:5], v[8:9]
	v_fmac_f64_e32 v[142:143], -0.5, v[6:7]
	v_fma_f64 v[154:155], s[12:13], v[2:3], v[142:143]
	v_fmac_f64_e32 v[142:143], s[16:17], v[2:3]
	v_fmac_f64_e32 v[142:143], s[2:3], v[0:1]
	s_load_dwordx2 s[2:3], s[0:1], 0x38
	v_add_f64 v[24:25], v[14:15], -v[22:23]
	v_add_f64 v[4:5], v[12:13], -v[4:5]
	;; [unrolled: 1-line block ×3, first 2 shown]
	v_fmac_f64_e32 v[154:155], s[18:19], v[0:1]
	v_mul_u32_u24_e32 v0, 50, v62
	v_mul_u32_u24_e32 v1, 50, v76
	v_add_f64 v[38:39], v[38:39], v[60:61]
	v_add_f64 v[18:19], v[18:19], v[24:25]
	;; [unrolled: 1-line block ×3, first 2 shown]
	v_add_u32_sdwa v0, v0, v63 dst_sel:DWORD dst_unused:UNUSED_PAD src0_sel:DWORD src1_sel:BYTE_0
	v_add_u32_sdwa v1, v1, v77 dst_sel:DWORD dst_unused:UNUSED_PAD src0_sel:DWORD src1_sel:BYTE_0
	v_fmac_f64_e32 v[136:137], s[14:15], v[38:39]
	v_fmac_f64_e32 v[124:125], s[14:15], v[38:39]
	;; [unrolled: 1-line block ×6, first 2 shown]
	v_lshl_add_u32 v203, v0, 4, v207
	v_lshl_add_u32 v212, v1, 4, v207
	s_waitcnt lgkmcnt(0)
	s_barrier
	ds_write_b128 v203, v[132:135]
	ds_write_b128 v203, v[120:123] offset:160
	ds_write_b128 v203, v[136:139] offset:320
	ds_write_b128 v203, v[124:127] offset:480
	ds_write_b128 v203, v[128:131] offset:640
	ds_write_b128 v212, v[156:159]
	ds_write_b128 v212, v[144:147] offset:160
	ds_write_b128 v212, v[152:155] offset:320
	;; [unrolled: 1-line block ×4, first 2 shown]
	s_waitcnt lgkmcnt(0)
	s_barrier
	s_and_saveexec_b64 s[0:1], vcc
	s_cbranch_execz .LBB0_3
; %bb.2:
	ds_read_b128 v[132:135], v173
	ds_read_b128 v[120:123], v173 offset:800
	ds_read_b128 v[136:139], v173 offset:1600
	;; [unrolled: 1-line block ×12, first 2 shown]
.LBB0_3:
	s_or_b64 exec, exec, s[0:1]
	v_subrev_u32_e32 v0, 50, v206
	v_cndmask_b32_e32 v0, v0, v206, vcc
	v_mul_hi_i32_i24_e32 v1, 0xc0, v0
	v_mul_i32_i24_e32 v0, 0xc0, v0
	v_lshl_add_u64 v[0:1], s[10:11], 0, v[0:1]
	global_load_dwordx4 v[60:63], v[0:1], off offset:640
	global_load_dwordx4 v[76:79], v[0:1], off offset:656
	;; [unrolled: 1-line block ×12, first 2 shown]
	s_mov_b32 s16, 0x4267c47c
	s_mov_b32 s0, 0xe00740e9
	;; [unrolled: 1-line block ×32, first 2 shown]
	s_waitcnt vmcnt(11) lgkmcnt(11)
	v_mul_f64 v[0:1], v[122:123], v[62:63]
	v_mul_f64 v[176:177], v[120:121], v[62:63]
	s_waitcnt vmcnt(10) lgkmcnt(10)
	v_mul_f64 v[178:179], v[136:137], v[78:79]
	v_fma_f64 v[244:245], v[120:121], v[60:61], -v[0:1]
	v_fmac_f64_e32 v[176:177], v[122:123], v[60:61]
	s_waitcnt vmcnt(6) lgkmcnt(6)
	v_mul_f64 v[186:187], v[144:145], v[114:115]
	s_waitcnt vmcnt(5) lgkmcnt(5)
	v_mul_f64 v[12:13], v[154:155], v[110:111]
	s_waitcnt vmcnt(4) lgkmcnt(4)
	v_mul_f64 v[190:191], v[140:141], v[102:103]
	s_waitcnt vmcnt(3) lgkmcnt(3)
	v_mul_f64 v[16:17], v[150:151], v[118:119]
	s_waitcnt vmcnt(2) lgkmcnt(2)
	v_mul_f64 v[18:19], v[162:163], v[106:107]
	v_mul_f64 v[14:15], v[142:143], v[102:103]
	s_waitcnt vmcnt(0) lgkmcnt(0)
	v_mul_f64 v[22:23], v[170:171], v[90:91]
	v_mul_f64 v[204:205], v[168:169], v[90:91]
	;; [unrolled: 1-line block ×5, first 2 shown]
	v_fmac_f64_e32 v[190:191], v[142:143], v[100:101]
	v_fma_f64 v[142:143], v[148:149], v[116:117], -v[16:17]
	v_fma_f64 v[148:149], v[160:161], v[104:105], -v[18:19]
	;; [unrolled: 1-line block ×3, first 2 shown]
	v_fmac_f64_e32 v[204:205], v[170:171], v[88:89]
	v_mul_f64 v[2:3], v[138:139], v[78:79]
	v_mul_f64 v[4:5], v[126:127], v[82:83]
	;; [unrolled: 1-line block ×5, first 2 shown]
	v_fmac_f64_e32 v[178:179], v[138:139], v[76:77]
	v_fmac_f64_e32 v[186:187], v[146:147], v[112:113]
	v_fma_f64 v[146:147], v[152:153], v[108:109], -v[12:13]
	v_fmac_f64_e32 v[200:201], v[166:167], v[92:93]
	v_add_f64 v[228:229], v[244:245], -v[160:161]
	v_add_f64 v[152:153], v[176:177], -v[204:205]
	v_fma_f64 v[248:249], v[136:137], v[76:77], -v[2:3]
	v_fma_f64 v[254:255], v[124:125], v[80:81], -v[4:5]
	v_fmac_f64_e32 v[192:193], v[150:151], v[116:117]
	v_fmac_f64_e32 v[196:197], v[162:163], v[104:105]
	v_fma_f64 v[150:151], v[164:165], v[92:93], -v[20:21]
	v_add_f64 v[220:221], v[244:245], v[160:161]
	v_mul_f64 v[162:163], v[152:153], s[16:17]
	v_mul_f64 v[4:5], v[228:229], s[16:17]
	v_add_f64 v[246:247], v[178:179], -v[200:201]
	v_mul_f64 v[180:181], v[124:125], v[82:83]
	v_mul_f64 v[6:7], v[130:131], v[86:87]
	;; [unrolled: 1-line block ×3, first 2 shown]
	v_fmac_f64_e32 v[188:189], v[154:155], v[108:109]
	v_add_f64 v[154:155], v[176:177], v[204:205]
	v_add_f64 v[224:225], v[248:249], v[150:151]
	v_add_f64 v[232:233], v[248:249], -v[150:151]
	v_fma_f64 v[2:3], s[0:1], v[220:221], v[162:163]
	v_accvgpr_write_b32 a49, v5
	v_mul_f64 v[164:165], v[246:247], s[22:23]
	v_mul_f64 v[184:185], v[156:157], v[98:99]
	v_fmac_f64_e32 v[180:181], v[126:127], v[80:81]
	v_fma_f64 v[24:25], v[128:129], v[84:85], -v[6:7]
	v_fma_f64 v[156:157], v[156:157], v[96:97], -v[8:9]
	v_add_f64 v[0:1], v[178:179], v[200:201]
	v_accvgpr_write_b32 a48, v4
	v_fma_f64 v[4:5], v[154:155], s[0:1], -v[4:5]
	v_add_f64 v[2:3], v[132:133], v[2:3]
	v_mul_f64 v[8:9], v[232:233], s[22:23]
	v_fma_f64 v[6:7], s[10:11], v[224:225], v[164:165]
	v_add_f64 v[4:5], v[134:135], v[4:5]
	v_add_f64 v[2:3], v[6:7], v[2:3]
	v_fma_f64 v[6:7], v[0:1], s[10:11], -v[8:9]
	v_add_f64 v[26:27], v[180:181], -v[196:197]
	v_mul_f64 v[182:183], v[128:129], v[86:87]
	v_accvgpr_write_b32 a51, v9
	v_add_f64 v[4:5], v[6:7], v[4:5]
	v_add_f64 v[250:251], v[254:255], -v[148:149]
	v_mul_f64 v[6:7], v[26:27], s[14:15]
	v_fmac_f64_e32 v[182:183], v[130:131], v[84:85]
	v_accvgpr_write_b32 a50, v8
	v_add_f64 v[236:237], v[254:255], v[148:149]
	v_mul_f64 v[8:9], v[250:251], s[14:15]
	v_accvgpr_write_b32 a53, v7
	v_add_f64 v[252:253], v[180:181], v[196:197]
	v_accvgpr_write_b32 a52, v6
	v_fma_f64 v[6:7], s[12:13], v[236:237], v[6:7]
	v_accvgpr_write_b32 a55, v9
	v_add_f64 v[36:37], v[182:183], -v[192:193]
	v_add_f64 v[6:7], v[6:7], v[2:3]
	v_accvgpr_write_b32 a54, v8
	v_fma_f64 v[2:3], v[252:253], s[12:13], -v[8:9]
	v_mul_f64 v[8:9], v[36:37], s[24:25]
	v_add_f64 v[242:243], v[24:25], v[142:143]
	v_add_f64 v[18:19], v[24:25], -v[142:143]
	v_accvgpr_write_b32 a57, v9
	v_fmac_f64_e32 v[184:185], v[158:159], v[96:97]
	v_fma_f64 v[144:145], v[144:145], v[112:113], -v[10:11]
	v_add_f64 v[4:5], v[2:3], v[4:5]
	v_add_f64 v[2:3], v[182:183], v[192:193]
	v_mul_f64 v[10:11], v[18:19], s[24:25]
	v_accvgpr_write_b32 a56, v8
	v_fma_f64 v[8:9], s[18:19], v[242:243], v[8:9]
	v_add_f64 v[6:7], v[8:9], v[6:7]
	v_fma_f64 v[8:9], v[2:3], s[18:19], -v[10:11]
	v_add_f64 v[138:139], v[184:185], -v[190:191]
	v_fma_f64 v[158:159], v[140:141], v[100:101], -v[14:15]
	v_accvgpr_write_b32 a59, v11
	v_add_f64 v[4:5], v[8:9], v[4:5]
	v_mul_f64 v[8:9], v[138:139], s[34:35]
	v_accvgpr_write_b32 a58, v10
	v_add_f64 v[10:11], v[156:157], v[158:159]
	v_accvgpr_write_b32 a61, v9
	v_accvgpr_write_b32 a60, v8
	v_fma_f64 v[8:9], s[26:27], v[10:11], v[8:9]
	v_add_f64 v[168:169], v[156:157], -v[158:159]
	v_add_f64 v[6:7], v[8:9], v[6:7]
	v_mul_f64 v[8:9], v[168:169], s[34:35]
	v_add_f64 v[12:13], v[184:185], v[190:191]
	v_accvgpr_write_b32 a63, v9
	v_accvgpr_write_b32 a62, v8
	v_fma_f64 v[8:9], v[12:13], s[26:27], -v[8:9]
	v_add_f64 v[198:199], v[186:187], -v[188:189]
	v_accvgpr_write_b32 a47, v25
	v_add_f64 v[4:5], v[8:9], v[4:5]
	v_mul_f64 v[8:9], v[198:199], s[38:39]
	v_accvgpr_write_b32 a46, v24
	v_add_f64 v[24:25], v[144:145], v[146:147]
	v_accvgpr_write_b32 a65, v9
	v_accvgpr_write_b32 a64, v8
	v_fma_f64 v[8:9], s[28:29], v[24:25], v[8:9]
	v_add_f64 v[234:235], v[144:145], -v[146:147]
	v_add_f64 v[120:121], v[8:9], v[6:7]
	v_mul_f64 v[6:7], v[234:235], s[38:39]
	v_add_f64 v[30:31], v[186:187], v[188:189]
	v_accvgpr_write_b32 a67, v7
	v_accvgpr_write_b32 a66, v6
	v_fma_f64 v[6:7], v[30:31], s[28:29], -v[6:7]
	v_add_f64 v[122:123], v[6:7], v[4:5]
	v_mul_f64 v[4:5], v[152:153], s[22:23]
	v_accvgpr_write_b32 a69, v5
	v_mul_f64 v[6:7], v[246:247], s[24:25]
	v_accvgpr_write_b32 a68, v4
	v_fma_f64 v[4:5], s[10:11], v[220:221], v[4:5]
	v_accvgpr_write_b32 a71, v7
	v_add_f64 v[4:5], v[132:133], v[4:5]
	v_accvgpr_write_b32 a70, v6
	v_fma_f64 v[6:7], s[18:19], v[224:225], v[6:7]
	v_add_f64 v[6:7], v[6:7], v[4:5]
	v_mul_f64 v[4:5], v[228:229], s[22:23]
	v_fma_f64 v[8:9], v[154:155], s[10:11], -v[4:5]
	v_add_f64 v[14:15], v[134:135], v[8:9]
	v_mul_f64 v[8:9], v[232:233], s[24:25]
	v_fma_f64 v[16:17], v[0:1], s[18:19], -v[8:9]
	v_add_f64 v[14:15], v[16:17], v[14:15]
	v_mul_f64 v[16:17], v[26:27], s[38:39]
	v_accvgpr_write_b32 a73, v17
	v_accvgpr_write_b32 a72, v16
	v_fma_f64 v[16:17], s[28:29], v[236:237], v[16:17]
	v_add_f64 v[20:21], v[16:17], v[6:7]
	v_mul_f64 v[16:17], v[250:251], s[38:39]
	v_fma_f64 v[6:7], v[252:253], s[28:29], -v[16:17]
	v_add_f64 v[14:15], v[6:7], v[14:15]
	v_mul_f64 v[6:7], v[36:37], s[30:31]
	v_fma_f64 v[22:23], s[26:27], v[242:243], v[6:7]
	v_add_f64 v[22:23], v[22:23], v[20:21]
	v_mul_f64 v[20:21], v[18:19], s[30:31]
	v_fma_f64 v[28:29], v[2:3], s[26:27], -v[20:21]
	v_add_f64 v[32:33], v[28:29], v[14:15]
	v_mul_f64 v[14:15], v[138:139], s[40:41]
	;; [unrolled: 6-line block ×4, first 2 shown]
	v_fma_f64 v[38:39], s[12:13], v[220:221], v[34:35]
	v_add_f64 v[128:129], v[132:133], v[38:39]
	v_mul_f64 v[38:39], v[246:247], s[38:39]
	v_fma_f64 v[130:131], s[28:29], v[224:225], v[38:39]
	v_mul_f64 v[170:171], v[228:229], s[14:15]
	v_add_f64 v[128:129], v[130:131], v[128:129]
	v_fma_f64 v[130:131], v[154:155], s[12:13], -v[170:171]
	v_mul_f64 v[216:217], v[232:233], s[38:39]
	v_add_f64 v[130:131], v[134:135], v[130:131]
	v_fma_f64 v[136:137], v[0:1], s[28:29], -v[216:217]
	v_mul_f64 v[166:167], v[26:27], s[42:43]
	v_add_f64 v[130:131], v[136:137], v[130:131]
	v_fma_f64 v[136:137], s[18:19], v[236:237], v[166:167]
	v_mul_f64 v[222:223], v[250:251], s[42:43]
	v_add_f64 v[128:129], v[136:137], v[128:129]
	v_fma_f64 v[136:137], v[252:253], s[18:19], -v[222:223]
	v_mul_f64 v[214:215], v[36:37], s[36:37]
	v_add_f64 v[130:131], v[136:137], v[130:131]
	v_fma_f64 v[136:137], s[0:1], v[242:243], v[214:215]
	v_add_f64 v[128:129], v[136:137], v[128:129]
	v_mul_f64 v[136:137], v[18:19], s[36:37]
	v_fma_f64 v[140:141], v[2:3], s[0:1], -v[136:137]
	v_mul_f64 v[218:219], v[138:139], s[22:23]
	v_add_f64 v[130:131], v[140:141], v[130:131]
	v_fma_f64 v[140:141], s[10:11], v[10:11], v[218:219]
	v_mul_f64 v[230:231], v[168:169], s[22:23]
	v_add_f64 v[128:129], v[140:141], v[128:129]
	v_fma_f64 v[140:141], v[12:13], s[10:11], -v[230:231]
	v_mul_f64 v[226:227], v[198:199], s[34:35]
	v_add_f64 v[130:131], v[140:141], v[130:131]
	v_fma_f64 v[140:141], s[26:27], v[24:25], v[226:227]
	v_mul_f64 v[194:195], v[234:235], s[34:35]
	v_add_f64 v[128:129], v[140:141], v[128:129]
	v_fma_f64 v[140:141], v[30:31], s[26:27], -v[194:195]
	v_add_f64 v[130:131], v[140:141], v[130:131]
	s_and_saveexec_b64 s[20:21], vcc
	s_cbranch_execz .LBB0_5
; %bb.4:
	v_mul_f64 v[140:141], v[220:221], s[0:1]
	v_accvgpr_write_b32 a78, v140
	v_accvgpr_write_b32 a79, v141
	v_mul_f64 v[140:141], v[154:155], s[0:1]
	v_accvgpr_write_b32 a94, v140
	v_accvgpr_write_b32 a95, v141
	;; [unrolled: 3-line block ×7, first 2 shown]
	v_accvgpr_write_b32 a4, v238
	v_accvgpr_write_b32 a1, v209
	;; [unrolled: 1-line block ×4, first 2 shown]
	v_mul_f64 v[208:209], v[154:155], s[28:29]
	s_mov_b32 s45, 0x3fcea1e5
	s_mov_b32 s44, s38
	v_accvgpr_write_b32 a83, v141
	v_mul_f64 v[140:141], v[0:1], s[10:11]
	v_accvgpr_write_b32 a5, v239
	v_accvgpr_write_b32 a6, v240
	;; [unrolled: 1-line block ×3, first 2 shown]
	v_mul_f64 v[238:239], v[0:1], s[0:1]
	v_accvgpr_write_b32 a92, v158
	v_fma_f64 v[210:211], s[44:45], v[228:229], v[208:209]
	v_accvgpr_write_b32 a98, v140
	v_accvgpr_write_b32 a84, v148
	v_mov_b32_e32 v175, v206
	v_accvgpr_write_b32 a40, v207
	v_mul_f64 v[206:207], v[252:253], s[26:27]
	v_accvgpr_write_b32 a96, v156
	v_accvgpr_write_b32 a93, v159
	v_fma_f64 v[158:159], s[16:17], v[232:233], v[238:239]
	v_add_f64 v[210:211], v[134:135], v[210:211]
	v_accvgpr_write_b32 a112, v162
	v_mul_f64 v[240:241], v[152:153], s[38:39]
	v_accvgpr_write_b32 a108, v244
	v_accvgpr_write_b32 a99, v141
	v_mul_f64 v[140:141], v[224:225], s[18:19]
	v_accvgpr_write_b32 a88, v144
	;; [unrolled: 3-line block ×3, first 2 shown]
	v_accvgpr_write_b32 a97, v157
	v_fma_f64 v[156:157], s[30:31], v[250:251], v[206:207]
	v_add_f64 v[158:159], v[158:159], v[210:211]
	v_accvgpr_write_b32 a113, v163
	v_mul_f64 v[162:163], v[246:247], s[36:37]
	v_accvgpr_write_b32 a114, v164
	v_accvgpr_write_b32 a109, v245
	v_fma_f64 v[244:245], s[28:29], v[220:221], v[240:241]
	v_accvgpr_write_b32 a104, v140
	v_accvgpr_write_b32 a89, v145
	v_mul_f64 v[144:145], v[12:13], s[18:19]
	v_accvgpr_write_b32 a90, v146
	v_accvgpr_write_b32 a87, v151
	v_fma_f64 v[150:151], s[22:23], v[18:19], v[148:149]
	v_add_f64 v[156:157], v[156:157], v[158:159]
	s_mov_b32 s47, 0x3fea55e2
	s_mov_b32 s46, s22
	v_accvgpr_write_b32 a41, v212
	v_mul_f64 v[212:213], v[26:27], s[34:35]
	v_accvgpr_write_b32 a102, v160
	v_accvgpr_write_b32 a115, v165
	v_fma_f64 v[164:165], s[0:1], v[224:225], v[162:163]
	v_add_f64 v[244:245], v[132:133], v[244:245]
	v_accvgpr_write_b32 a105, v141
	v_mul_f64 v[140:141], v[30:31], s[12:13]
	v_accvgpr_write_b32 a80, v142
	v_accvgpr_write_b32 a91, v147
	v_fma_f64 v[146:147], s[42:43], v[168:169], v[144:145]
	v_add_f64 v[150:151], v[150:151], v[156:157]
	v_mul_f64 v[158:159], v[36:37], s[46:47]
	v_accvgpr_write_b32 a103, v161
	v_fma_f64 v[160:161], s[26:27], v[236:237], v[212:213]
	v_add_f64 v[164:165], v[164:165], v[244:245]
	v_accvgpr_write_b32 a81, v143
	v_fma_f64 v[142:143], s[14:15], v[234:235], v[140:141]
	v_add_f64 v[146:147], v[146:147], v[150:151]
	v_accvgpr_write_b32 a119, v7
	v_mul_f64 v[150:151], v[138:139], s[24:25]
	v_fma_f64 v[210:211], s[10:11], v[242:243], v[158:159]
	v_add_f64 v[160:161], v[160:161], v[164:165]
	v_accvgpr_write_b32 a118, v6
	v_add_f64 v[6:7], v[142:143], v[146:147]
	v_mul_f64 v[146:147], v[198:199], s[40:41]
	v_fma_f64 v[156:157], s[18:19], v[10:11], v[150:151]
	v_add_f64 v[160:161], v[210:211], v[160:161]
	v_fma_f64 v[142:143], s[12:13], v[24:25], v[146:147]
	v_add_f64 v[156:157], v[156:157], v[160:161]
	v_accvgpr_write_b32 a121, v5
	v_fmac_f64_e32 v[208:209], s[38:39], v[228:229]
	v_accvgpr_write_b32 a120, v4
	v_add_f64 v[4:5], v[142:143], v[156:157]
	v_fmac_f64_e32 v[238:239], s[36:37], v[232:233]
	v_add_f64 v[142:143], v[134:135], v[208:209]
	v_fmac_f64_e32 v[206:207], s[34:35], v[250:251]
	;; [unrolled: 2-line block ×4, first 2 shown]
	v_add_f64 v[142:143], v[148:149], v[142:143]
	v_fma_f64 v[156:157], v[220:221], s[28:29], -v[240:241]
	v_mul_f64 v[208:209], v[154:155], s[26:27]
	v_add_f64 v[142:143], v[144:145], v[142:143]
	v_fma_f64 v[144:145], v[10:11], s[18:19], -v[150:151]
	v_fma_f64 v[150:151], v[224:225], s[0:1], -v[162:163]
	v_add_f64 v[156:157], v[132:133], v[156:157]
	v_mul_f64 v[164:165], v[0:1], s[12:13]
	v_fma_f64 v[210:211], s[30:31], v[228:229], v[208:209]
	v_fmac_f64_e32 v[140:141], s[40:41], v[234:235]
	v_fma_f64 v[148:149], v[236:237], s[26:27], -v[212:213]
	v_add_f64 v[150:151], v[150:151], v[156:157]
	v_mul_f64 v[160:161], v[252:253], s[10:11]
	v_fma_f64 v[206:207], s[14:15], v[232:233], v[164:165]
	v_add_f64 v[210:211], v[134:135], v[210:211]
	v_add_f64 v[142:143], v[140:141], v[142:143]
	v_fma_f64 v[140:141], v[24:25], s[12:13], -v[146:147]
	v_fma_f64 v[146:147], v[242:243], s[10:11], -v[158:159]
	v_add_f64 v[148:149], v[148:149], v[150:151]
	v_mul_f64 v[156:157], v[2:3], s[28:29]
	v_fma_f64 v[162:163], s[46:47], v[250:251], v[160:161]
	v_add_f64 v[206:207], v[206:207], v[210:211]
	v_add_f64 v[146:147], v[146:147], v[148:149]
	v_mul_f64 v[150:151], v[12:13], s[0:1]
	v_fma_f64 v[158:159], s[38:39], v[18:19], v[156:157]
	v_add_f64 v[162:163], v[162:163], v[206:207]
	;; [unrolled: 4-line block ×3, first 2 shown]
	v_mul_f64 v[238:239], v[152:153], s[34:35]
	v_fmac_f64_e32 v[208:209], s[34:35], v[228:229]
	v_add_f64 v[140:141], v[140:141], v[144:145]
	v_fma_f64 v[144:145], s[42:43], v[234:235], v[148:149]
	v_add_f64 v[146:147], v[146:147], v[158:159]
	v_mul_f64 v[212:213], v[246:247], s[40:41]
	v_fma_f64 v[240:241], s[26:27], v[220:221], v[238:239]
	v_fmac_f64_e32 v[164:165], s[40:41], v[232:233]
	v_add_f64 v[208:209], v[134:135], v[208:209]
	v_add_f64 v[146:147], v[144:145], v[146:147]
	v_mul_f64 v[210:211], v[26:27], s[22:23]
	v_fma_f64 v[144:145], s[12:13], v[224:225], v[212:213]
	v_add_f64 v[240:241], v[132:133], v[240:241]
	v_add_f64 v[164:165], v[164:165], v[208:209]
	v_fmac_f64_e32 v[160:161], s[22:23], v[250:251]
	v_mul_f64 v[206:207], v[36:37], s[44:45]
	v_add_f64 v[144:145], v[144:145], v[240:241]
	v_fma_f64 v[240:241], s[10:11], v[236:237], v[210:211]
	v_add_f64 v[160:161], v[160:161], v[164:165]
	v_fmac_f64_e32 v[156:157], s[44:45], v[18:19]
	v_mul_f64 v[162:163], v[138:139], s[36:37]
	v_add_f64 v[144:145], v[240:241], v[144:145]
	v_fma_f64 v[240:241], s[28:29], v[242:243], v[206:207]
	v_fmac_f64_e32 v[150:151], s[36:37], v[168:169]
	v_add_f64 v[156:157], v[156:157], v[160:161]
	v_mul_f64 v[158:159], v[198:199], s[24:25]
	v_add_f64 v[144:145], v[240:241], v[144:145]
	v_fma_f64 v[240:241], s[0:1], v[10:11], v[162:163]
	v_fmac_f64_e32 v[148:149], s[24:25], v[234:235]
	v_add_f64 v[150:151], v[150:151], v[156:157]
	v_add_f64 v[144:145], v[240:241], v[144:145]
	v_fma_f64 v[240:241], s[18:19], v[24:25], v[158:159]
	v_add_f64 v[150:151], v[148:149], v[150:151]
	v_fma_f64 v[148:149], v[24:25], s[18:19], -v[158:159]
	v_fma_f64 v[158:159], v[242:243], s[28:29], -v[206:207]
	;; [unrolled: 1-line block ×5, first 2 shown]
	v_add_f64 v[206:207], v[132:133], v[206:207]
	v_mul_f64 v[238:239], v[154:155], s[18:19]
	v_add_f64 v[144:145], v[240:241], v[144:145]
	v_mul_f64 v[240:241], v[0:1], s[18:19]
	v_mul_f64 v[208:209], v[0:1], s[28:29]
	v_fma_f64 v[160:161], v[236:237], s[10:11], -v[210:211]
	v_add_f64 v[162:163], v[162:163], v[206:207]
	v_mul_f64 v[0:1], v[0:1], s[26:27]
	v_fma_f64 v[154:155], s[42:43], v[228:229], v[238:239]
	v_add_f64 v[160:161], v[160:161], v[162:163]
	v_mul_f64 v[210:211], v[252:253], s[0:1]
	v_fma_f64 v[212:213], s[34:35], v[232:233], v[0:1]
	v_add_f64 v[154:155], v[134:135], v[154:155]
	v_add_f64 v[158:159], v[158:159], v[160:161]
	v_mul_f64 v[206:207], v[2:3], s[12:13]
	v_add_f64 v[154:155], v[212:213], v[154:155]
	v_fma_f64 v[212:213], s[16:17], v[250:251], v[210:211]
	v_fmac_f64_e32 v[238:239], s[24:25], v[228:229]
	v_add_f64 v[156:157], v[156:157], v[158:159]
	v_mul_f64 v[160:161], v[12:13], s[28:29]
	v_add_f64 v[154:155], v[212:213], v[154:155]
	v_fma_f64 v[212:213], s[40:41], v[18:19], v[206:207]
	v_fmac_f64_e32 v[0:1], s[30:31], v[232:233]
	v_add_f64 v[238:239], v[134:135], v[238:239]
	v_add_f64 v[148:149], v[148:149], v[156:157]
	v_mul_f64 v[156:157], v[30:31], s[10:11]
	v_fma_f64 v[162:163], s[38:39], v[168:169], v[160:161]
	v_add_f64 v[154:155], v[212:213], v[154:155]
	v_mul_f64 v[212:213], v[152:153], s[24:25]
	v_fmac_f64_e32 v[210:211], s[36:37], v[250:251]
	v_add_f64 v[0:1], v[0:1], v[238:239]
	v_fma_f64 v[158:159], s[22:23], v[234:235], v[156:157]
	v_add_f64 v[154:155], v[162:163], v[154:155]
	v_mul_f64 v[162:163], v[246:247], s[30:31]
	v_fma_f64 v[152:153], s[18:19], v[220:221], v[212:213]
	v_fmac_f64_e32 v[206:207], s[14:15], v[18:19]
	v_accvgpr_write_b32 a42, v60
	v_add_f64 v[0:1], v[210:211], v[0:1]
	v_fma_f64 v[212:213], v[220:221], s[18:19], -v[212:213]
	v_add_f64 v[154:155], v[158:159], v[154:155]
	v_mul_f64 v[158:159], v[198:199], s[46:47]
	v_mul_f64 v[26:27], v[26:27], s[36:37]
	v_fma_f64 v[198:199], s[26:27], v[224:225], v[162:163]
	v_add_f64 v[152:153], v[132:133], v[152:153]
	v_fmac_f64_e32 v[160:161], s[44:45], v[168:169]
	v_mul_f64 v[250:251], v[2:3], s[18:19]
	v_mul_f64 v[228:229], v[2:3], s[26:27]
	v_accvgpr_write_b32 a43, v61
	v_accvgpr_write_b32 a44, v62
	;; [unrolled: 1-line block ×3, first 2 shown]
	v_mov_b64_e32 v[60:61], v[254:255]
	v_mov_b64_e32 v[254:255], v[248:249]
	v_mul_f64 v[248:249], v[2:3], s[0:1]
	v_add_f64 v[0:1], v[206:207], v[0:1]
	v_fma_f64 v[2:3], v[224:225], s[26:27], -v[162:163]
	v_add_f64 v[212:213], v[132:133], v[212:213]
	v_accvgpr_write_b32 a77, v7
	v_mul_f64 v[36:37], v[36:37], s[14:15]
	v_add_f64 v[152:153], v[198:199], v[152:153]
	v_fma_f64 v[198:199], s[0:1], v[236:237], v[26:27]
	v_fmac_f64_e32 v[156:157], s[46:47], v[234:235]
	v_add_f64 v[0:1], v[160:161], v[0:1]
	v_fma_f64 v[26:27], v[236:237], s[0:1], -v[26:27]
	v_add_f64 v[212:213], v[2:3], v[212:213]
	v_accvgpr_write_b32 a76, v6
	v_accvgpr_write_b32 a75, v5
	;; [unrolled: 1-line block ×3, first 2 shown]
	v_mul_f64 v[138:139], v[138:139], s[44:45]
	v_add_f64 v[152:153], v[198:199], v[152:153]
	v_fma_f64 v[198:199], s[12:13], v[242:243], v[36:37]
	v_fma_f64 v[36:37], v[242:243], s[12:13], -v[36:37]
	v_add_f64 v[2:3], v[156:157], v[0:1]
	v_add_f64 v[0:1], v[26:27], v[212:213]
	v_accvgpr_read_b32 v4, a116
	v_add_f64 v[152:153], v[198:199], v[152:153]
	v_fma_f64 v[198:199], s[28:29], v[10:11], v[138:139]
	v_fma_f64 v[138:139], v[10:11], s[28:29], -v[138:139]
	v_add_f64 v[0:1], v[36:37], v[0:1]
	v_accvgpr_read_b32 v5, a117
	v_mul_f64 v[244:245], v[224:225], s[28:29]
	v_add_f64 v[152:153], v[198:199], v[152:153]
	v_fma_f64 v[198:199], s[10:11], v[24:25], v[158:159]
	v_mul_f64 v[162:163], v[30:31], s[28:29]
	v_mul_f64 v[224:225], v[30:31], s[0:1]
	;; [unrolled: 1-line block ×3, first 2 shown]
	v_add_f64 v[0:1], v[138:139], v[0:1]
	v_add_f64 v[138:139], v[170:171], v[4:5]
	v_accvgpr_read_b32 v4, a110
	v_add_f64 v[152:153], v[198:199], v[152:153]
	v_mul_f64 v[198:199], v[252:253], s[12:13]
	v_mul_f64 v[234:235], v[252:253], s[28:29]
	;; [unrolled: 1-line block ×3, first 2 shown]
	v_add_f64 v[26:27], v[194:195], v[30:31]
	v_add_f64 v[30:31], v[136:137], v[248:249]
	;; [unrolled: 1-line block ×4, first 2 shown]
	v_accvgpr_read_b32 v5, a111
	v_add_f64 v[36:37], v[222:223], v[252:253]
	v_add_f64 v[136:137], v[136:137], v[138:139]
	v_add_f64 v[34:35], v[4:5], -v[34:35]
	v_accvgpr_read_b32 v4, a106
	v_accvgpr_read_b32 v6, a120
	v_mul_f64 v[18:19], v[242:243], s[18:19]
	v_mul_f64 v[232:233], v[242:243], s[26:27]
	v_mul_f64 v[238:239], v[242:243], s[0:1]
	v_mul_f64 v[206:207], v[12:13], s[26:27]
	v_mul_f64 v[242:243], v[12:13], s[12:13]
	v_mul_f64 v[12:13], v[12:13], s[10:11]
	v_add_f64 v[36:37], v[36:37], v[136:137]
	v_accvgpr_read_b32 v5, a107
	v_accvgpr_read_b32 v7, a121
	v_mul_f64 v[168:169], v[236:237], s[18:19]
	v_add_f64 v[12:13], v[230:231], v[12:13]
	v_add_f64 v[30:31], v[30:31], v[36:37]
	v_add_f64 v[36:37], v[244:245], -v[38:39]
	v_add_f64 v[34:35], v[132:133], v[34:35]
	v_add_f64 v[4:5], v[6:7], v[4:5]
	;; [unrolled: 1-line block ×3, first 2 shown]
	v_add_f64 v[30:31], v[168:169], -v[166:167]
	v_add_f64 v[34:35], v[36:37], v[34:35]
	v_add_f64 v[8:9], v[8:9], v[240:241]
	;; [unrolled: 1-line block ×3, first 2 shown]
	v_mul_f64 v[210:211], v[10:11], s[26:27]
	v_mul_f64 v[160:161], v[10:11], s[12:13]
	;; [unrolled: 1-line block ×3, first 2 shown]
	v_add_f64 v[12:13], v[26:27], v[12:13]
	v_add_f64 v[26:27], v[238:239], -v[214:215]
	v_add_f64 v[30:31], v[30:31], v[34:35]
	v_add_f64 v[16:17], v[16:17], v[234:235]
	;; [unrolled: 1-line block ×3, first 2 shown]
	v_mul_f64 v[164:165], v[236:237], s[12:13]
	v_mul_f64 v[246:247], v[236:237], s[28:29]
	v_mul_f64 v[236:237], v[24:25], s[28:29]
	v_mul_f64 v[220:221], v[24:25], s[0:1]
	v_fma_f64 v[158:159], v[24:25], s[10:11], -v[158:159]
	v_mul_f64 v[24:25], v[24:25], s[26:27]
	v_add_f64 v[10:11], v[10:11], -v[218:219]
	v_add_f64 v[26:27], v[26:27], v[30:31]
	v_add_f64 v[20:21], v[20:21], v[228:229]
	;; [unrolled: 1-line block ×3, first 2 shown]
	v_add_f64 v[24:25], v[24:25], -v[226:227]
	v_add_f64 v[10:11], v[10:11], v[26:27]
	v_add_f64 v[26:27], v[28:29], v[242:243]
	;; [unrolled: 1-line block ×7, first 2 shown]
	v_add_f64 v[4:5], v[220:221], -v[22:23]
	v_accvgpr_read_b32 v20, a70
	v_accvgpr_read_b32 v22, a104
	;; [unrolled: 1-line block ×4, first 2 shown]
	v_add_f64 v[20:21], v[22:23], -v[20:21]
	v_accvgpr_read_b32 v22, a68
	v_accvgpr_read_b32 v24, a100
	;; [unrolled: 1-line block ×4, first 2 shown]
	v_add_f64 v[22:23], v[24:25], -v[22:23]
	v_add_f64 v[22:23], v[132:133], v[22:23]
	v_add_f64 v[20:21], v[20:21], v[22:23]
	v_accvgpr_read_b32 v22, a50
	v_accvgpr_read_b32 v24, a98
	;; [unrolled: 1-line block ×6, first 2 shown]
	v_add_f64 v[22:23], v[22:23], v[24:25]
	v_accvgpr_read_b32 v24, a48
	v_accvgpr_read_b32 v26, a94
	;; [unrolled: 1-line block ×3, first 2 shown]
	v_add_f64 v[16:17], v[246:247], -v[16:17]
	v_accvgpr_read_b32 v25, a49
	v_accvgpr_read_b32 v27, a95
	;; [unrolled: 1-line block ×3, first 2 shown]
	v_add_f64 v[16:17], v[16:17], v[20:21]
	v_accvgpr_read_b32 v20, a54
	v_add_f64 v[24:25], v[24:25], v[26:27]
	v_add_f64 v[6:7], v[232:233], -v[6:7]
	v_accvgpr_read_b32 v21, a55
	v_add_f64 v[24:25], v[134:135], v[24:25]
	v_add_f64 v[6:7], v[6:7], v[16:17]
	v_accvgpr_read_b32 v16, a58
	v_add_f64 v[20:21], v[20:21], v[198:199]
	v_add_f64 v[22:23], v[22:23], v[24:25]
	v_accvgpr_read_b32 v17, a59
	v_add_f64 v[20:21], v[20:21], v[22:23]
	v_accvgpr_read_b32 v22, a82
	v_accvgpr_read_b32 v24, a114
	v_add_f64 v[14:15], v[160:161], -v[14:15]
	v_add_f64 v[16:17], v[16:17], v[250:251]
	v_accvgpr_read_b32 v23, a83
	v_accvgpr_read_b32 v25, a115
	v_add_f64 v[6:7], v[14:15], v[6:7]
	v_accvgpr_read_b32 v14, a62
	v_add_f64 v[16:17], v[16:17], v[20:21]
	v_accvgpr_read_b32 v20, a56
	v_add_f64 v[22:23], v[22:23], -v[24:25]
	v_accvgpr_read_b32 v24, a78
	v_accvgpr_read_b32 v26, a112
	v_add_f64 v[6:7], v[4:5], v[6:7]
	v_accvgpr_read_b32 v4, a66
	v_accvgpr_read_b32 v15, a63
	;; [unrolled: 1-line block ×6, first 2 shown]
	v_add_f64 v[14:15], v[14:15], v[206:207]
	v_add_f64 v[18:19], v[18:19], -v[20:21]
	v_accvgpr_read_b32 v20, a52
	v_add_f64 v[24:25], v[24:25], -v[26:27]
	v_add_f64 v[4:5], v[4:5], v[162:163]
	v_add_f64 v[14:15], v[14:15], v[16:17]
	v_accvgpr_read_b32 v21, a53
	v_add_f64 v[24:25], v[132:133], v[24:25]
	v_add_f64 v[16:17], v[4:5], v[14:15]
	v_accvgpr_read_b32 v14, a60
	v_add_f64 v[20:21], v[164:165], -v[20:21]
	v_add_f64 v[22:23], v[22:23], v[24:25]
	v_accvgpr_read_b32 v4, a64
	v_accvgpr_read_b32 v15, a61
	v_add_f64 v[20:21], v[20:21], v[22:23]
	v_accvgpr_read_b32 v5, a65
	v_add_f64 v[14:15], v[210:211], -v[14:15]
	v_add_f64 v[18:19], v[18:19], v[20:21]
	v_add_f64 v[4:5], v[236:237], -v[4:5]
	v_add_f64 v[14:15], v[14:15], v[18:19]
	v_add_f64 v[14:15], v[4:5], v[14:15]
	;; [unrolled: 1-line block ×14, first 2 shown]
	v_accvgpr_read_b32 v4, a108
	v_accvgpr_read_b32 v5, a109
	v_add_f64 v[4:5], v[132:133], v[4:5]
	v_add_f64 v[4:5], v[4:5], v[254:255]
	v_accvgpr_read_b32 v18, a46
	v_add_f64 v[4:5], v[4:5], v[60:61]
	v_accvgpr_read_b32 v19, a47
	;; [unrolled: 2-line block ×3, first 2 shown]
	v_accvgpr_read_b32 v19, a97
	v_add_f64 v[4:5], v[4:5], v[18:19]
	v_accvgpr_read_b32 v18, a88
	v_accvgpr_read_b32 v19, a89
	v_add_f64 v[4:5], v[4:5], v[18:19]
	v_accvgpr_read_b32 v18, a90
	v_accvgpr_read_b32 v19, a91
	v_add_f64 v[4:5], v[4:5], v[18:19]
	v_accvgpr_read_b32 v18, a92
	v_accvgpr_read_b32 v19, a93
	v_add_f64 v[4:5], v[4:5], v[18:19]
	v_accvgpr_read_b32 v18, a80
	v_accvgpr_read_b32 v19, a81
	v_add_f64 v[4:5], v[4:5], v[18:19]
	v_accvgpr_read_b32 v18, a84
	v_accvgpr_read_b32 v19, a85
	v_add_f64 v[4:5], v[4:5], v[18:19]
	v_accvgpr_read_b32 v18, a86
	v_accvgpr_read_b32 v19, a87
	v_add_f64 v[4:5], v[4:5], v[18:19]
	v_accvgpr_read_b32 v18, a102
	v_accvgpr_read_b32 v241, a7
	v_accvgpr_read_b32 v207, a40
	v_mov_b32_e32 v206, v175
	v_accvgpr_read_b32 v211, a3
	v_accvgpr_read_b32 v63, a45
	;; [unrolled: 1-line block ×13, first 2 shown]
	v_add_f64 v[18:19], v[4:5], v[18:19]
	v_lshl_add_u32 v4, v206, 4, v207
	v_add_f64 v[0:1], v[158:159], v[0:1]
	ds_write_b128 v173, v[18:21]
	ds_write_b128 v4, v[14:17] offset:800
	ds_write_b128 v4, v[6:9] offset:1600
	;; [unrolled: 1-line block ×12, first 2 shown]
.LBB0_5:
	s_or_b64 exec, exec, s[20:21]
	v_mov_b32_e32 v175, 0
	v_lshl_add_u64 v[12:13], s[8:9], 0, v[174:175]
	s_mov_b64 s[0:1], 0x28a0
	v_lshl_add_u64 v[0:1], v[12:13], 0, s[0:1]
	s_movk_i32 s0, 0x2000
	v_add_co_u32_e64 v2, s[0:1], s0, v12
	s_waitcnt lgkmcnt(0)
	s_nop 0
	v_addc_co_u32_e64 v3, s[0:1], 0, v13, s[0:1]
	s_movk_i32 s0, 0x3000
	s_nop 0
	v_add_co_u32_e64 v8, s[0:1], s0, v12
	s_barrier
	s_nop 0
	v_addc_co_u32_e64 v9, s[0:1], 0, v13, s[0:1]
	s_movk_i32 s0, 0x4000
	global_load_dwordx4 v[132:135], v[0:1], off offset:1040
	global_load_dwordx4 v[136:139], v[0:1], off offset:2080
	;; [unrolled: 1-line block ×3, first 2 shown]
	s_nop 0
	global_load_dwordx4 v[0:3], v[0:1], off offset:3120
	v_add_co_u32_e64 v24, s[0:1], s0, v12
	global_load_dwordx4 v[4:7], v[8:9], off offset:2272
	s_nop 0
	global_load_dwordx4 v[8:11], v[8:9], off offset:3312
	v_addc_co_u32_e64 v25, s[0:1], 0, v13, s[0:1]
	global_load_dwordx4 v[12:15], v[24:25], off offset:256
	global_load_dwordx4 v[16:19], v[24:25], off offset:1296
	global_load_dwordx4 v[20:23], v[24:25], off offset:2336
	s_nop 0
	global_load_dwordx4 v[24:27], v[24:25], off offset:3376
	ds_read_b128 v[28:31], v173
	ds_read_b128 v[32:35], v173 offset:1040
	ds_read_b128 v[36:39], v173 offset:2080
	;; [unrolled: 1-line block ×9, first 2 shown]
	s_mov_b32 s8, 0x134454ff
	s_mov_b32 s9, 0xbfee6f0e
	;; [unrolled: 1-line block ×16, first 2 shown]
	s_waitcnt vmcnt(9) lgkmcnt(8)
	v_mul_f64 v[178:179], v[34:35], v[134:135]
	s_waitcnt vmcnt(8) lgkmcnt(7)
	v_mul_f64 v[180:181], v[38:39], v[138:139]
	s_waitcnt vmcnt(7)
	v_mul_f64 v[174:175], v[30:31], v[142:143]
	v_mul_f64 v[176:177], v[28:29], v[142:143]
	;; [unrolled: 1-line block ×4, first 2 shown]
	s_waitcnt vmcnt(6) lgkmcnt(6)
	v_mul_f64 v[182:183], v[146:147], v[2:3]
	v_mul_f64 v[138:139], v[144:145], v[2:3]
	s_waitcnt vmcnt(5) lgkmcnt(5)
	v_mul_f64 v[184:185], v[150:151], v[6:7]
	v_mul_f64 v[2:3], v[148:149], v[6:7]
	;; [unrolled: 3-line block ×5, first 2 shown]
	v_fma_f64 v[174:175], v[28:29], v[140:141], -v[174:175]
	v_fmac_f64_e32 v[176:177], v[30:31], v[140:141]
	v_fma_f64 v[140:141], v[32:33], v[132:133], -v[178:179]
	v_fmac_f64_e32 v[142:143], v[34:35], v[132:133]
	;; [unrolled: 2-line block ×5, first 2 shown]
	s_waitcnt vmcnt(1) lgkmcnt(1)
	v_mul_f64 v[192:193], v[166:167], v[22:23]
	v_mul_f64 v[18:19], v[164:165], v[22:23]
	v_fma_f64 v[4:5], v[152:153], v[8:9], -v[186:187]
	v_fmac_f64_e32 v[6:7], v[154:155], v[8:9]
	v_fma_f64 v[8:9], v[156:157], v[12:13], -v[188:189]
	v_fmac_f64_e32 v[10:11], v[158:159], v[12:13]
	;; [unrolled: 2-line block ×3, first 2 shown]
	ds_write_b128 v173, v[174:177]
	ds_write_b128 v173, v[140:143] offset:1040
	ds_write_b128 v173, v[132:135] offset:2080
	;; [unrolled: 1-line block ×7, first 2 shown]
	s_waitcnt vmcnt(0) lgkmcnt(8)
	v_mul_f64 v[0:1], v[170:171], v[26:27]
	v_mul_f64 v[2:3], v[168:169], v[26:27]
	v_fma_f64 v[16:17], v[164:165], v[20:21], -v[192:193]
	v_fmac_f64_e32 v[18:19], v[166:167], v[20:21]
	v_fma_f64 v[0:1], v[168:169], v[24:25], -v[0:1]
	v_fmac_f64_e32 v[2:3], v[170:171], v[24:25]
	ds_write_b128 v173, v[16:19] offset:8320
	ds_write_b128 v173, v[0:3] offset:9360
	s_waitcnt lgkmcnt(0)
	s_barrier
	ds_read_b128 v[132:135], v173
	ds_read_b128 v[136:139], v173 offset:1040
	ds_read_b128 v[0:3], v173 offset:2080
	;; [unrolled: 1-line block ×9, first 2 shown]
	s_waitcnt lgkmcnt(5)
	v_add_f64 v[142:143], v[0:1], -v[8:9]
	s_waitcnt lgkmcnt(3)
	v_add_f64 v[34:35], v[8:9], v[16:17]
	v_fma_f64 v[34:35], -0.5, v[34:35], v[132:133]
	s_waitcnt lgkmcnt(1)
	v_add_f64 v[36:37], v[2:3], -v[26:27]
	v_fma_f64 v[38:39], s[8:9], v[36:37], v[34:35]
	v_add_f64 v[140:141], v[10:11], -v[18:19]
	v_add_f64 v[144:145], v[24:25], -v[16:17]
	v_fmac_f64_e32 v[34:35], s[12:13], v[36:37]
	v_fmac_f64_e32 v[38:39], s[0:1], v[140:141]
	v_add_f64 v[142:143], v[142:143], v[144:145]
	v_fmac_f64_e32 v[34:35], s[14:15], v[140:141]
	v_fmac_f64_e32 v[38:39], s[10:11], v[142:143]
	;; [unrolled: 1-line block ×3, first 2 shown]
	v_add_f64 v[142:143], v[0:1], v[24:25]
	v_add_f64 v[32:33], v[132:133], v[0:1]
	v_fmac_f64_e32 v[132:133], -0.5, v[142:143]
	v_fma_f64 v[142:143], s[12:13], v[140:141], v[132:133]
	v_fmac_f64_e32 v[132:133], s[8:9], v[140:141]
	v_fmac_f64_e32 v[142:143], s[0:1], v[36:37]
	;; [unrolled: 1-line block ×3, first 2 shown]
	v_add_f64 v[36:37], v[134:135], v[2:3]
	v_add_f64 v[36:37], v[36:37], v[10:11]
	v_add_f64 v[144:145], v[8:9], -v[0:1]
	v_add_f64 v[146:147], v[16:17], -v[24:25]
	v_add_f64 v[36:37], v[36:37], v[18:19]
	v_add_f64 v[32:33], v[32:33], v[8:9]
	;; [unrolled: 1-line block ×6, first 2 shown]
	v_fmac_f64_e32 v[142:143], s[10:11], v[144:145]
	v_fmac_f64_e32 v[132:133], s[10:11], v[144:145]
	v_fma_f64 v[144:145], -0.5, v[36:37], v[134:135]
	v_add_f64 v[0:1], v[0:1], -v[24:25]
	v_add_f64 v[32:33], v[32:33], v[24:25]
	v_fma_f64 v[146:147], s[12:13], v[0:1], v[144:145]
	v_add_f64 v[8:9], v[8:9], -v[16:17]
	v_add_f64 v[16:17], v[2:3], -v[10:11]
	;; [unrolled: 1-line block ×3, first 2 shown]
	v_fmac_f64_e32 v[144:145], s[8:9], v[0:1]
	v_fmac_f64_e32 v[146:147], s[14:15], v[8:9]
	v_add_f64 v[16:17], v[16:17], v[24:25]
	v_fmac_f64_e32 v[144:145], s[0:1], v[8:9]
	v_fmac_f64_e32 v[146:147], s[10:11], v[16:17]
	;; [unrolled: 1-line block ×3, first 2 shown]
	v_add_f64 v[16:17], v[2:3], v[26:27]
	v_fmac_f64_e32 v[134:135], -0.5, v[16:17]
	v_fma_f64 v[148:149], s[8:9], v[8:9], v[134:135]
	v_fmac_f64_e32 v[134:135], s[12:13], v[8:9]
	v_fmac_f64_e32 v[148:149], s[14:15], v[0:1]
	;; [unrolled: 1-line block ×3, first 2 shown]
	v_add_f64 v[0:1], v[136:137], v[4:5]
	v_add_f64 v[0:1], v[0:1], v[12:13]
	;; [unrolled: 1-line block ×3, first 2 shown]
	v_add_f64 v[2:3], v[10:11], -v[2:3]
	v_add_f64 v[10:11], v[18:19], -v[26:27]
	s_waitcnt lgkmcnt(0)
	v_add_f64 v[24:25], v[0:1], v[28:29]
	v_add_f64 v[0:1], v[12:13], v[20:21]
	;; [unrolled: 1-line block ×3, first 2 shown]
	v_fma_f64 v[18:19], -0.5, v[0:1], v[136:137]
	v_add_f64 v[0:1], v[6:7], -v[30:31]
	v_fmac_f64_e32 v[148:149], s[10:11], v[2:3]
	v_fmac_f64_e32 v[134:135], s[10:11], v[2:3]
	v_fma_f64 v[10:11], s[8:9], v[0:1], v[18:19]
	v_add_f64 v[2:3], v[14:15], -v[22:23]
	v_add_f64 v[8:9], v[4:5], -v[12:13]
	;; [unrolled: 1-line block ×3, first 2 shown]
	v_fmac_f64_e32 v[18:19], s[12:13], v[0:1]
	v_fmac_f64_e32 v[10:11], s[0:1], v[2:3]
	v_add_f64 v[8:9], v[8:9], v[16:17]
	v_fmac_f64_e32 v[18:19], s[14:15], v[2:3]
	v_fmac_f64_e32 v[10:11], s[10:11], v[8:9]
	;; [unrolled: 1-line block ×3, first 2 shown]
	v_add_f64 v[8:9], v[4:5], v[28:29]
	v_fmac_f64_e32 v[136:137], -0.5, v[8:9]
	v_fma_f64 v[26:27], s[12:13], v[2:3], v[136:137]
	v_fmac_f64_e32 v[136:137], s[8:9], v[2:3]
	v_fmac_f64_e32 v[26:27], s[0:1], v[0:1]
	;; [unrolled: 1-line block ×3, first 2 shown]
	v_add_f64 v[0:1], v[138:139], v[6:7]
	v_add_f64 v[0:1], v[0:1], v[14:15]
	;; [unrolled: 1-line block ×3, first 2 shown]
	v_add_f64 v[8:9], v[12:13], -v[4:5]
	v_add_f64 v[16:17], v[20:21], -v[28:29]
	v_add_f64 v[150:151], v[0:1], v[30:31]
	v_add_f64 v[0:1], v[14:15], v[22:23]
	;; [unrolled: 1-line block ×3, first 2 shown]
	v_fma_f64 v[36:37], -0.5, v[0:1], v[138:139]
	v_add_f64 v[0:1], v[4:5], -v[28:29]
	v_fmac_f64_e32 v[26:27], s[10:11], v[8:9]
	v_fmac_f64_e32 v[136:137], s[10:11], v[8:9]
	v_fma_f64 v[28:29], s[12:13], v[0:1], v[36:37]
	v_add_f64 v[2:3], v[12:13], -v[20:21]
	v_add_f64 v[4:5], v[6:7], -v[14:15]
	v_add_f64 v[8:9], v[30:31], -v[22:23]
	v_fmac_f64_e32 v[36:37], s[8:9], v[0:1]
	v_fmac_f64_e32 v[28:29], s[14:15], v[2:3]
	v_add_f64 v[4:5], v[4:5], v[8:9]
	v_fmac_f64_e32 v[36:37], s[0:1], v[2:3]
	v_fmac_f64_e32 v[28:29], s[10:11], v[4:5]
	;; [unrolled: 1-line block ×3, first 2 shown]
	v_add_f64 v[4:5], v[6:7], v[30:31]
	v_fmac_f64_e32 v[138:139], -0.5, v[4:5]
	v_fma_f64 v[20:21], s[8:9], v[2:3], v[138:139]
	v_add_f64 v[4:5], v[14:15], -v[6:7]
	v_add_f64 v[6:7], v[22:23], -v[30:31]
	v_fmac_f64_e32 v[138:139], s[12:13], v[2:3]
	v_add_f64 v[4:5], v[4:5], v[6:7]
	v_fmac_f64_e32 v[138:139], s[0:1], v[0:1]
	v_fmac_f64_e32 v[20:21], s[14:15], v[0:1]
	;; [unrolled: 1-line block ×4, first 2 shown]
	v_mul_f64 v[152:153], v[138:139], s[8:9]
	v_mul_f64 v[138:139], v[138:139], s[18:19]
	;; [unrolled: 1-line block ×4, first 2 shown]
	v_fmac_f64_e32 v[152:153], s[18:19], v[136:137]
	v_mul_f64 v[154:155], v[36:37], s[0:1]
	v_mul_f64 v[156:157], v[10:11], s[14:15]
	;; [unrolled: 1-line block ×3, first 2 shown]
	v_fmac_f64_e32 v[138:139], s[12:13], v[136:137]
	v_mul_f64 v[136:137], v[36:37], s[20:21]
	v_fmac_f64_e32 v[22:23], s[16:17], v[10:11]
	v_fmac_f64_e32 v[30:31], s[10:11], v[26:27]
	;; [unrolled: 1-line block ×6, first 2 shown]
	v_add_f64 v[0:1], v[32:33], v[24:25]
	v_add_f64 v[4:5], v[38:39], v[22:23]
	;; [unrolled: 1-line block ×10, first 2 shown]
	v_add_f64 v[20:21], v[32:33], -v[24:25]
	v_add_f64 v[24:25], v[38:39], -v[22:23]
	;; [unrolled: 1-line block ×10, first 2 shown]
	s_barrier
	ds_write_b128 v202, v[0:3]
	ds_write_b128 v202, v[4:7] offset:16
	ds_write_b128 v202, v[8:11] offset:32
	;; [unrolled: 1-line block ×9, first 2 shown]
	s_waitcnt lgkmcnt(0)
	s_barrier
	ds_read_b128 v[132:135], v173
	ds_read_b128 v[136:139], v173 offset:1040
	ds_read_b128 v[0:3], v173 offset:2080
	;; [unrolled: 1-line block ×9, first 2 shown]
	s_waitcnt lgkmcnt(7)
	v_mul_f64 v[32:33], v[50:51], v[2:3]
	v_fmac_f64_e32 v[32:33], v[48:49], v[0:1]
	v_mul_f64 v[0:1], v[50:51], v[0:1]
	v_fma_f64 v[0:1], v[48:49], v[2:3], -v[0:1]
	s_waitcnt lgkmcnt(5)
	v_mul_f64 v[2:3], v[46:47], v[10:11]
	v_fmac_f64_e32 v[2:3], v[44:45], v[8:9]
	v_mul_f64 v[8:9], v[46:47], v[8:9]
	v_fma_f64 v[8:9], v[44:45], v[10:11], -v[8:9]
	;; [unrolled: 5-line block ×4, first 2 shown]
	v_mul_f64 v[26:27], v[58:59], v[6:7]
	v_fmac_f64_e32 v[26:27], v[56:57], v[4:5]
	v_mul_f64 v[4:5], v[58:59], v[4:5]
	v_fma_f64 v[4:5], v[56:57], v[6:7], -v[4:5]
	v_mul_f64 v[6:7], v[66:67], v[14:15]
	v_fmac_f64_e32 v[6:7], v[64:65], v[12:13]
	v_mul_f64 v[12:13], v[66:67], v[12:13]
	v_fma_f64 v[12:13], v[64:65], v[14:15], -v[12:13]
	;; [unrolled: 4-line block ×3, first 2 shown]
	s_waitcnt lgkmcnt(0)
	v_mul_f64 v[22:23], v[74:75], v[30:31]
	v_fmac_f64_e32 v[22:23], v[72:73], v[28:29]
	v_mul_f64 v[28:29], v[74:75], v[28:29]
	v_fma_f64 v[28:29], v[72:73], v[30:31], -v[28:29]
	v_add_f64 v[30:31], v[132:133], v[32:33]
	v_add_f64 v[30:31], v[30:31], v[2:3]
	;; [unrolled: 1-line block ×5, first 2 shown]
	v_fma_f64 v[52:53], -0.5, v[30:31], v[132:133]
	v_add_f64 v[30:31], v[0:1], -v[24:25]
	v_fma_f64 v[44:45], s[8:9], v[30:31], v[52:53]
	v_add_f64 v[34:35], v[8:9], -v[16:17]
	v_add_f64 v[36:37], v[32:33], -v[2:3]
	;; [unrolled: 1-line block ×3, first 2 shown]
	v_fmac_f64_e32 v[52:53], s[12:13], v[30:31]
	v_fmac_f64_e32 v[44:45], s[0:1], v[34:35]
	v_add_f64 v[36:37], v[36:37], v[38:39]
	v_fmac_f64_e32 v[52:53], s[14:15], v[34:35]
	v_fmac_f64_e32 v[44:45], s[10:11], v[36:37]
	;; [unrolled: 1-line block ×3, first 2 shown]
	v_add_f64 v[36:37], v[32:33], v[18:19]
	v_fmac_f64_e32 v[132:133], -0.5, v[36:37]
	v_fma_f64 v[48:49], s[12:13], v[34:35], v[132:133]
	v_fmac_f64_e32 v[132:133], s[8:9], v[34:35]
	v_fmac_f64_e32 v[48:49], s[0:1], v[30:31]
	;; [unrolled: 1-line block ×3, first 2 shown]
	v_add_f64 v[30:31], v[134:135], v[0:1]
	v_add_f64 v[30:31], v[30:31], v[8:9]
	;; [unrolled: 1-line block ×5, first 2 shown]
	v_add_f64 v[38:39], v[10:11], -v[18:19]
	v_fma_f64 v[54:55], -0.5, v[30:31], v[134:135]
	v_add_f64 v[18:19], v[32:33], -v[18:19]
	v_add_f64 v[36:37], v[2:3], -v[32:33]
	v_fma_f64 v[46:47], s[12:13], v[18:19], v[54:55]
	v_add_f64 v[2:3], v[2:3], -v[10:11]
	v_add_f64 v[10:11], v[0:1], -v[8:9]
	;; [unrolled: 1-line block ×3, first 2 shown]
	v_fmac_f64_e32 v[54:55], s[8:9], v[18:19]
	v_fmac_f64_e32 v[46:47], s[14:15], v[2:3]
	v_add_f64 v[10:11], v[10:11], v[30:31]
	v_fmac_f64_e32 v[54:55], s[0:1], v[2:3]
	v_fmac_f64_e32 v[46:47], s[10:11], v[10:11]
	;; [unrolled: 1-line block ×3, first 2 shown]
	v_add_f64 v[10:11], v[0:1], v[24:25]
	v_fmac_f64_e32 v[134:135], -0.5, v[10:11]
	v_fma_f64 v[50:51], s[8:9], v[2:3], v[134:135]
	v_add_f64 v[0:1], v[8:9], -v[0:1]
	v_add_f64 v[8:9], v[16:17], -v[24:25]
	v_fmac_f64_e32 v[134:135], s[12:13], v[2:3]
	v_fmac_f64_e32 v[50:51], s[14:15], v[18:19]
	v_add_f64 v[0:1], v[0:1], v[8:9]
	v_fmac_f64_e32 v[134:135], s[0:1], v[18:19]
	v_fmac_f64_e32 v[50:51], s[10:11], v[0:1]
	;; [unrolled: 1-line block ×3, first 2 shown]
	v_add_f64 v[0:1], v[136:137], v[26:27]
	v_add_f64 v[0:1], v[0:1], v[6:7]
	;; [unrolled: 1-line block ×5, first 2 shown]
	v_fma_f64 v[64:65], -0.5, v[0:1], v[136:137]
	v_add_f64 v[0:1], v[4:5], -v[28:29]
	v_fma_f64 v[68:69], s[8:9], v[0:1], v[64:65]
	v_add_f64 v[2:3], v[12:13], -v[20:21]
	v_add_f64 v[8:9], v[26:27], -v[6:7]
	;; [unrolled: 1-line block ×3, first 2 shown]
	v_fmac_f64_e32 v[64:65], s[12:13], v[0:1]
	v_fmac_f64_e32 v[68:69], s[0:1], v[2:3]
	v_add_f64 v[8:9], v[8:9], v[10:11]
	v_fmac_f64_e32 v[64:65], s[14:15], v[2:3]
	v_fmac_f64_e32 v[68:69], s[10:11], v[8:9]
	;; [unrolled: 1-line block ×3, first 2 shown]
	v_add_f64 v[8:9], v[26:27], v[22:23]
	v_fmac_f64_e32 v[136:137], -0.5, v[8:9]
	v_fma_f64 v[72:73], s[12:13], v[2:3], v[136:137]
	v_fmac_f64_e32 v[136:137], s[8:9], v[2:3]
	v_fmac_f64_e32 v[72:73], s[0:1], v[0:1]
	;; [unrolled: 1-line block ×3, first 2 shown]
	v_add_f64 v[0:1], v[138:139], v[4:5]
	v_add_f64 v[0:1], v[0:1], v[12:13]
	;; [unrolled: 1-line block ×3, first 2 shown]
	v_add_f64 v[8:9], v[6:7], -v[26:27]
	v_add_f64 v[10:11], v[14:15], -v[22:23]
	v_add_f64 v[58:59], v[0:1], v[28:29]
	v_add_f64 v[0:1], v[12:13], v[20:21]
	;; [unrolled: 1-line block ×3, first 2 shown]
	v_fma_f64 v[66:67], -0.5, v[0:1], v[138:139]
	v_add_f64 v[0:1], v[26:27], -v[22:23]
	v_fmac_f64_e32 v[72:73], s[10:11], v[8:9]
	v_fmac_f64_e32 v[136:137], s[10:11], v[8:9]
	v_fma_f64 v[70:71], s[12:13], v[0:1], v[66:67]
	v_add_f64 v[2:3], v[6:7], -v[14:15]
	v_add_f64 v[6:7], v[4:5], -v[12:13]
	;; [unrolled: 1-line block ×3, first 2 shown]
	v_fmac_f64_e32 v[66:67], s[8:9], v[0:1]
	v_fmac_f64_e32 v[70:71], s[14:15], v[2:3]
	v_add_f64 v[6:7], v[6:7], v[8:9]
	v_fmac_f64_e32 v[66:67], s[0:1], v[2:3]
	v_fmac_f64_e32 v[70:71], s[10:11], v[6:7]
	;; [unrolled: 1-line block ×3, first 2 shown]
	v_add_f64 v[6:7], v[4:5], v[28:29]
	v_fmac_f64_e32 v[138:139], -0.5, v[6:7]
	v_fma_f64 v[74:75], s[8:9], v[2:3], v[138:139]
	v_add_f64 v[4:5], v[12:13], -v[4:5]
	v_add_f64 v[6:7], v[20:21], -v[28:29]
	v_fmac_f64_e32 v[138:139], s[12:13], v[2:3]
	v_add_f64 v[36:37], v[36:37], v[38:39]
	v_fmac_f64_e32 v[74:75], s[14:15], v[0:1]
	v_add_f64 v[4:5], v[4:5], v[6:7]
	v_fmac_f64_e32 v[138:139], s[0:1], v[0:1]
	v_fmac_f64_e32 v[48:49], s[10:11], v[36:37]
	;; [unrolled: 1-line block ×5, first 2 shown]
	s_barrier
	ds_write_b128 v203, v[40:43]
	ds_write_b128 v203, v[44:47] offset:160
	ds_write_b128 v203, v[48:51] offset:320
	;; [unrolled: 1-line block ×4, first 2 shown]
	ds_write_b128 v212, v[56:59]
	ds_write_b128 v212, v[68:71] offset:160
	ds_write_b128 v212, v[72:75] offset:320
	;; [unrolled: 1-line block ×4, first 2 shown]
	s_waitcnt lgkmcnt(0)
	s_barrier
	s_and_saveexec_b64 s[0:1], vcc
	s_cbranch_execz .LBB0_7
; %bb.6:
	ds_read_b128 v[40:43], v173
	ds_read_b128 v[44:47], v173 offset:800
	ds_read_b128 v[48:51], v173 offset:1600
	;; [unrolled: 1-line block ×12, first 2 shown]
.LBB0_7:
	s_or_b64 exec, exec, s[0:1]
	s_and_saveexec_b64 s[0:1], vcc
	s_cbranch_execz .LBB0_9
; %bb.8:
	s_waitcnt lgkmcnt(6)
	v_mul_f64 v[140:141], v[114:115], v[70:71]
	v_mul_f64 v[0:1], v[114:115], v[68:69]
	v_fmac_f64_e32 v[140:141], v[112:113], v[68:69]
	s_waitcnt lgkmcnt(5)
	v_mul_f64 v[142:143], v[110:111], v[74:75]
	v_fma_f64 v[112:113], v[112:113], v[70:71], -v[0:1]
	v_mul_f64 v[0:1], v[110:111], v[72:73]
	v_fmac_f64_e32 v[142:143], v[108:109], v[72:73]
	v_fma_f64 v[108:109], v[108:109], v[74:75], -v[0:1]
	v_mul_f64 v[0:1], v[98:99], v[56:57]
	s_waitcnt lgkmcnt(4)
	v_mul_f64 v[74:75], v[102:103], v[138:139]
	v_fma_f64 v[110:111], v[96:97], v[58:59], -v[0:1]
	v_mul_f64 v[0:1], v[102:103], v[136:137]
	v_fmac_f64_e32 v[74:75], v[100:101], v[136:137]
	v_fma_f64 v[100:101], v[100:101], v[138:139], -v[0:1]
	v_mul_f64 v[0:1], v[86:87], v[52:53]
	v_mul_f64 v[72:73], v[98:99], v[58:59]
	v_fma_f64 v[136:137], v[84:85], v[54:55], -v[0:1]
	s_waitcnt lgkmcnt(3)
	v_mul_f64 v[0:1], v[118:119], v[64:65]
	v_fmac_f64_e32 v[72:73], v[96:97], v[56:57]
	v_mul_f64 v[98:99], v[86:87], v[54:55]
	v_mul_f64 v[96:97], v[118:119], v[66:67]
	v_fma_f64 v[86:87], v[116:117], v[66:67], -v[0:1]
	v_mul_f64 v[0:1], v[82:83], v[132:133]
	v_fmac_f64_e32 v[96:97], v[116:117], v[64:65]
	v_fma_f64 v[116:117], v[80:81], v[134:135], -v[0:1]
	s_waitcnt lgkmcnt(2)
	v_mul_f64 v[0:1], v[106:107], v[128:129]
	v_fmac_f64_e32 v[98:99], v[84:85], v[52:53]
	v_mul_f64 v[102:103], v[82:83], v[134:135]
	v_mul_f64 v[84:85], v[106:107], v[130:131]
	v_fma_f64 v[82:83], v[104:105], v[130:131], -v[0:1]
	v_mul_f64 v[0:1], v[78:79], v[48:49]
	v_fmac_f64_e32 v[102:103], v[80:81], v[132:133]
	v_fmac_f64_e32 v[84:85], v[104:105], v[128:129]
	v_mul_f64 v[104:105], v[78:79], v[50:51]
	s_waitcnt lgkmcnt(1)
	v_mul_f64 v[80:81], v[94:95], v[126:127]
	v_fma_f64 v[106:107], v[76:77], v[50:51], -v[0:1]
	v_mul_f64 v[0:1], v[94:95], v[124:125]
	v_fmac_f64_e32 v[104:105], v[76:77], v[48:49]
	v_fmac_f64_e32 v[80:81], v[92:93], v[124:125]
	v_fma_f64 v[78:79], v[92:93], v[126:127], -v[0:1]
	v_mul_f64 v[92:93], v[62:63], v[46:47]
	s_waitcnt lgkmcnt(0)
	v_mul_f64 v[76:77], v[90:91], v[122:123]
	v_mul_f64 v[0:1], v[62:63], v[44:45]
	v_fmac_f64_e32 v[92:93], v[60:61], v[44:45]
	v_fmac_f64_e32 v[76:77], v[88:89], v[120:121]
	s_mov_b32 s28, 0x4bc48dbf
	v_fma_f64 v[94:95], v[60:61], v[46:47], -v[0:1]
	v_mul_f64 v[0:1], v[90:91], v[120:121]
	v_add_f64 v[16:17], v[92:93], -v[76:77]
	s_mov_b32 s29, 0xbfcea1e5
	v_fma_f64 v[88:89], v[88:89], v[122:123], -v[0:1]
	s_mov_b32 s26, 0x93053d00
	s_mov_b32 s20, 0x24c2f84
	v_add_f64 v[4:5], v[104:105], -v[80:81]
	s_mov_b32 s25, 0x3fddbe06
	s_mov_b32 s24, 0x4267c47c
	;; [unrolled: 1-line block ×3, first 2 shown]
	v_mul_f64 v[48:49], v[16:17], s[28:29]
	v_add_f64 v[0:1], v[94:95], v[88:89]
	s_mov_b32 s27, 0xbfef11f4
	s_mov_b32 s34, 0x42a4c3d2
	v_add_f64 v[150:151], v[102:103], -v[84:85]
	s_mov_b32 s21, 0xbfe5384d
	s_mov_b32 s16, 0xd0032e0c
	v_mul_f64 v[38:39], v[4:5], s[24:25]
	v_add_f64 v[124:125], v[106:107], v[78:79]
	s_mov_b32 s19, 0x3fec55a7
	v_fma_f64 v[14:15], s[26:27], v[0:1], v[48:49]
	s_mov_b32 s14, 0x2ef20147
	v_add_f64 v[148:149], v[98:99], -v[96:97]
	s_mov_b32 s35, 0x3fea55e2
	s_mov_b32 s12, 0x1ea71119
	v_mul_f64 v[36:37], v[150:151], s[20:21]
	v_add_f64 v[128:129], v[116:117], v[82:83]
	s_mov_b32 s17, 0xbfe7f3cc
	v_fma_f64 v[12:13], s[18:19], v[124:125], v[38:39]
	v_add_f64 v[14:15], v[42:43], v[14:15]
	v_add_f64 v[28:29], v[94:95], -v[88:89]
	s_mov_b32 s22, 0x66966769
	v_add_f64 v[146:147], v[72:73], -v[74:75]
	s_mov_b32 s15, 0xbfedeba7
	s_mov_b32 s10, 0xb2365da1
	v_mul_f64 v[34:35], v[148:149], s[34:35]
	v_add_f64 v[118:119], v[136:137], v[86:87]
	s_mov_b32 s13, 0x3fe22d96
	v_fma_f64 v[10:11], s[16:17], v[128:129], v[36:37]
	v_add_f64 v[12:13], v[12:13], v[14:15]
	v_add_f64 v[26:27], v[106:107], -v[78:79]
	v_add_f64 v[14:15], v[92:93], v[76:77]
	v_mul_f64 v[68:69], v[28:29], s[28:29]
	v_add_f64 v[144:145], v[140:141], -v[142:143]
	s_mov_b32 s23, 0x3fefc445
	s_mov_b32 s8, 0xebaa3ed8
	v_mul_f64 v[32:33], v[146:147], s[14:15]
	v_add_f64 v[138:139], v[110:111], v[100:101]
	s_mov_b32 s11, 0xbfd6b1d8
	v_fma_f64 v[8:9], s[12:13], v[118:119], v[34:35]
	v_add_f64 v[10:11], v[10:11], v[12:13]
	v_add_f64 v[24:25], v[116:117], -v[82:83]
	v_add_f64 v[12:13], v[104:105], v[80:81]
	v_mul_f64 v[64:65], v[26:27], s[24:25]
	v_fma_f64 v[70:71], v[14:15], s[26:27], -v[68:69]
	v_fma_f64 v[48:49], v[0:1], s[26:27], -v[48:49]
	v_mul_f64 v[30:31], v[144:145], s[22:23]
	v_add_f64 v[114:115], v[112:113], v[108:109]
	s_mov_b32 s9, 0x3fbedb7d
	v_fma_f64 v[6:7], s[10:11], v[138:139], v[32:33]
	v_add_f64 v[8:9], v[8:9], v[10:11]
	v_add_f64 v[22:23], v[136:137], -v[86:87]
	v_add_f64 v[10:11], v[102:103], v[84:85]
	v_mul_f64 v[60:61], v[24:25], s[20:21]
	v_fma_f64 v[66:67], v[12:13], s[18:19], -v[64:65]
	v_add_f64 v[70:71], v[40:41], v[70:71]
	v_fma_f64 v[38:39], v[124:125], s[18:19], -v[38:39]
	v_add_f64 v[48:49], v[42:43], v[48:49]
	v_fma_f64 v[2:3], s[8:9], v[114:115], v[30:31]
	v_add_f64 v[6:7], v[6:7], v[8:9]
	v_add_f64 v[20:21], v[110:111], -v[100:101]
	v_add_f64 v[8:9], v[98:99], v[96:97]
	v_mul_f64 v[56:57], v[22:23], s[34:35]
	v_fma_f64 v[62:63], v[10:11], s[16:17], -v[60:61]
	v_add_f64 v[66:67], v[66:67], v[70:71]
	v_fma_f64 v[36:37], v[128:129], s[16:17], -v[36:37]
	v_add_f64 v[38:39], v[38:39], v[48:49]
	v_add_f64 v[46:47], v[2:3], v[6:7]
	v_add_f64 v[18:19], v[112:113], -v[108:109]
	v_add_f64 v[6:7], v[72:73], v[74:75]
	v_mul_f64 v[54:55], v[20:21], s[14:15]
	v_fma_f64 v[58:59], v[8:9], s[12:13], -v[56:57]
	v_add_f64 v[62:63], v[62:63], v[66:67]
	v_fma_f64 v[34:35], v[118:119], s[12:13], -v[34:35]
	v_add_f64 v[36:37], v[36:37], v[38:39]
	v_add_f64 v[2:3], v[140:141], v[142:143]
	v_mul_f64 v[52:53], v[18:19], s[22:23]
	v_fma_f64 v[50:51], v[6:7], s[10:11], -v[54:55]
	v_add_f64 v[58:59], v[58:59], v[62:63]
	v_fma_f64 v[32:33], v[138:139], s[10:11], -v[32:33]
	v_add_f64 v[34:35], v[34:35], v[36:37]
	;; [unrolled: 2-line block ×4, first 2 shown]
	v_fmac_f64_e32 v[68:69], s[26:27], v[14:15]
	v_add_f64 v[44:45], v[44:45], v[50:51]
	v_add_f64 v[50:51], v[30:31], v[32:33]
	v_fmac_f64_e32 v[64:65], s[18:19], v[12:13]
	v_add_f64 v[30:31], v[40:41], v[68:69]
	v_fmac_f64_e32 v[60:61], s[16:17], v[10:11]
	v_add_f64 v[30:31], v[64:65], v[30:31]
	v_mul_f64 v[62:63], v[16:17], s[20:21]
	v_fmac_f64_e32 v[56:57], s[12:13], v[8:9]
	v_add_f64 v[30:31], v[60:61], v[30:31]
	s_mov_b32 s31, 0xbfea55e2
	s_mov_b32 s30, s34
	v_mul_f64 v[58:59], v[4:5], s[22:23]
	v_fma_f64 v[64:65], s[16:17], v[0:1], v[62:63]
	v_fmac_f64_e32 v[54:55], s[10:11], v[6:7]
	v_add_f64 v[30:31], v[56:57], v[30:31]
	s_mov_b32 s41, 0x3fcea1e5
	s_mov_b32 s40, s28
	v_mul_f64 v[56:57], v[150:151], s[30:31]
	v_fma_f64 v[60:61], s[8:9], v[124:125], v[58:59]
	v_add_f64 v[64:65], v[42:43], v[64:65]
	v_mul_f64 v[122:123], v[28:29], s[20:21]
	v_fmac_f64_e32 v[52:53], s[8:9], v[2:3]
	v_add_f64 v[30:31], v[54:55], v[30:31]
	v_mul_f64 v[38:39], v[148:149], s[40:41]
	v_fma_f64 v[54:55], s[12:13], v[128:129], v[56:57]
	v_add_f64 v[60:61], v[60:61], v[64:65]
	v_mul_f64 v[90:91], v[26:27], s[22:23]
	v_fma_f64 v[126:127], v[14:15], s[16:17], -v[122:123]
	v_add_f64 v[48:49], v[52:53], v[30:31]
	v_mul_f64 v[34:35], v[146:147], s[24:25]
	v_fma_f64 v[52:53], s[26:27], v[118:119], v[38:39]
	v_add_f64 v[54:55], v[54:55], v[60:61]
	v_mul_f64 v[68:69], v[24:25], s[30:31]
	v_fma_f64 v[120:121], v[12:13], s[8:9], -v[90:91]
	;; [unrolled: 6-line block ×3, first 2 shown]
	v_add_f64 v[120:121], v[120:121], v[126:127]
	v_fma_f64 v[32:33], s[10:11], v[114:115], v[30:31]
	v_add_f64 v[36:37], v[36:37], v[52:53]
	v_mul_f64 v[60:61], v[20:21], s[24:25]
	v_fma_f64 v[66:67], v[8:9], s[26:27], -v[64:65]
	v_add_f64 v[70:71], v[70:71], v[120:121]
	v_add_f64 v[54:55], v[32:33], v[36:37]
	v_mul_f64 v[32:33], v[18:19], s[14:15]
	v_fma_f64 v[52:53], v[6:7], s[18:19], -v[60:61]
	v_add_f64 v[66:67], v[66:67], v[70:71]
	v_fma_f64 v[36:37], v[2:3], s[10:11], -v[32:33]
	v_add_f64 v[52:53], v[52:53], v[66:67]
	v_add_f64 v[52:53], v[36:37], v[52:53]
	v_fma_f64 v[36:37], v[118:119], s[26:27], -v[38:39]
	v_fma_f64 v[38:39], v[128:129], s[12:13], -v[56:57]
	;; [unrolled: 1-line block ×4, first 2 shown]
	v_add_f64 v[58:59], v[42:43], v[58:59]
	v_add_f64 v[56:57], v[56:57], v[58:59]
	;; [unrolled: 1-line block ×3, first 2 shown]
	v_fma_f64 v[34:35], v[138:139], s[18:19], -v[34:35]
	v_add_f64 v[36:37], v[36:37], v[38:39]
	v_fma_f64 v[30:31], v[114:115], s[10:11], -v[30:31]
	v_add_f64 v[34:35], v[34:35], v[36:37]
	v_fmac_f64_e32 v[122:123], s[16:17], v[14:15]
	v_add_f64 v[58:59], v[30:31], v[34:35]
	v_fmac_f64_e32 v[90:91], s[8:9], v[12:13]
	;; [unrolled: 2-line block ×3, first 2 shown]
	v_add_f64 v[30:31], v[90:91], v[30:31]
	s_mov_b32 s39, 0x3fe5384d
	s_mov_b32 s38, s20
	v_mul_f64 v[70:71], v[16:17], s[14:15]
	v_fmac_f64_e32 v[64:65], s[26:27], v[8:9]
	v_add_f64 v[30:31], v[68:69], v[30:31]
	v_mul_f64 v[66:67], v[4:5], s[38:39]
	v_fma_f64 v[90:91], s[10:11], v[0:1], v[70:71]
	v_add_f64 v[30:31], v[64:65], v[30:31]
	s_mov_b32 s37, 0xbfefc445
	s_mov_b32 s36, s22
	v_mul_f64 v[64:65], v[150:151], s[24:25]
	v_fma_f64 v[68:69], s[16:17], v[124:125], v[66:67]
	v_add_f64 v[90:91], v[42:43], v[90:91]
	v_mul_f64 v[134:135], v[28:29], s[14:15]
	v_fmac_f64_e32 v[60:61], s[18:19], v[6:7]
	v_mul_f64 v[38:39], v[148:149], s[36:37]
	v_fma_f64 v[62:63], s[18:19], v[128:129], v[64:65]
	v_add_f64 v[68:69], v[68:69], v[90:91]
	v_mul_f64 v[130:131], v[26:27], s[38:39]
	v_fma_f64 v[152:153], v[14:15], s[10:11], -v[134:135]
	v_fmac_f64_e32 v[32:33], s[10:11], v[2:3]
	v_add_f64 v[30:31], v[60:61], v[30:31]
	v_mul_f64 v[34:35], v[146:147], s[40:41]
	v_fma_f64 v[60:61], s[8:9], v[118:119], v[38:39]
	v_add_f64 v[62:63], v[62:63], v[68:69]
	v_mul_f64 v[122:123], v[24:25], s[24:25]
	v_fma_f64 v[132:133], v[12:13], s[16:17], -v[130:131]
	v_add_f64 v[152:153], v[40:41], v[152:153]
	v_add_f64 v[56:57], v[32:33], v[30:31]
	v_mul_f64 v[30:31], v[144:145], s[34:35]
	v_fma_f64 v[36:37], s[26:27], v[138:139], v[34:35]
	v_add_f64 v[60:61], v[60:61], v[62:63]
	v_mul_f64 v[90:91], v[22:23], s[36:37]
	v_fma_f64 v[126:127], v[10:11], s[18:19], -v[122:123]
	v_add_f64 v[132:133], v[132:133], v[152:153]
	v_fma_f64 v[32:33], s[12:13], v[114:115], v[30:31]
	v_add_f64 v[36:37], v[36:37], v[60:61]
	v_mul_f64 v[68:69], v[20:21], s[40:41]
	v_fma_f64 v[120:121], v[8:9], s[8:9], -v[90:91]
	v_add_f64 v[126:127], v[126:127], v[132:133]
	v_add_f64 v[62:63], v[32:33], v[36:37]
	v_mul_f64 v[32:33], v[18:19], s[34:35]
	v_fma_f64 v[60:61], v[6:7], s[26:27], -v[68:69]
	v_add_f64 v[120:121], v[120:121], v[126:127]
	v_fma_f64 v[36:37], v[2:3], s[12:13], -v[32:33]
	v_add_f64 v[60:61], v[60:61], v[120:121]
	v_add_f64 v[60:61], v[36:37], v[60:61]
	v_fma_f64 v[36:37], v[118:119], s[8:9], -v[38:39]
	v_fma_f64 v[38:39], v[128:129], s[18:19], -v[64:65]
	;; [unrolled: 1-line block ×4, first 2 shown]
	v_add_f64 v[66:67], v[42:43], v[66:67]
	v_add_f64 v[64:65], v[64:65], v[66:67]
	v_add_f64 v[38:39], v[38:39], v[64:65]
	v_fma_f64 v[34:35], v[138:139], s[26:27], -v[34:35]
	v_add_f64 v[36:37], v[36:37], v[38:39]
	v_fma_f64 v[30:31], v[114:115], s[12:13], -v[30:31]
	v_add_f64 v[34:35], v[34:35], v[36:37]
	v_fmac_f64_e32 v[134:135], s[10:11], v[14:15]
	v_add_f64 v[66:67], v[30:31], v[34:35]
	v_fmac_f64_e32 v[130:131], s[16:17], v[12:13]
	;; [unrolled: 2-line block ×3, first 2 shown]
	v_add_f64 v[30:31], v[130:131], v[30:31]
	v_mul_f64 v[126:127], v[16:17], s[36:37]
	v_fmac_f64_e32 v[90:91], s[8:9], v[8:9]
	v_add_f64 v[30:31], v[122:123], v[30:31]
	s_mov_b32 s35, 0x3fedeba7
	s_mov_b32 s34, s14
	v_mul_f64 v[120:121], v[4:5], s[28:29]
	v_fma_f64 v[130:131], s[8:9], v[0:1], v[126:127]
	v_add_f64 v[30:31], v[90:91], v[30:31]
	v_mul_f64 v[90:91], v[150:151], s[34:35]
	v_fma_f64 v[122:123], s[26:27], v[124:125], v[120:121]
	v_add_f64 v[130:131], v[42:43], v[130:131]
	v_mul_f64 v[158:159], v[28:29], s[36:37]
	v_fmac_f64_e32 v[68:69], s[26:27], v[6:7]
	v_mul_f64 v[38:39], v[148:149], s[24:25]
	v_fma_f64 v[70:71], s[10:11], v[128:129], v[90:91]
	v_add_f64 v[122:123], v[122:123], v[130:131]
	v_mul_f64 v[154:155], v[26:27], s[28:29]
	v_fma_f64 v[160:161], v[14:15], s[8:9], -v[158:159]
	v_fmac_f64_e32 v[32:33], s[12:13], v[2:3]
	v_add_f64 v[30:31], v[68:69], v[30:31]
	v_mul_f64 v[34:35], v[146:147], s[30:31]
	v_fma_f64 v[68:69], s[18:19], v[118:119], v[38:39]
	v_add_f64 v[70:71], v[70:71], v[122:123]
	v_mul_f64 v[134:135], v[24:25], s[34:35]
	v_fma_f64 v[156:157], v[12:13], s[26:27], -v[154:155]
	v_add_f64 v[160:161], v[40:41], v[160:161]
	v_add_f64 v[64:65], v[32:33], v[30:31]
	v_mul_f64 v[30:31], v[144:145], s[20:21]
	v_fma_f64 v[36:37], s[12:13], v[138:139], v[34:35]
	v_add_f64 v[68:69], v[68:69], v[70:71]
	v_mul_f64 v[130:131], v[22:23], s[24:25]
	v_fma_f64 v[152:153], v[10:11], s[10:11], -v[134:135]
	v_add_f64 v[156:157], v[156:157], v[160:161]
	v_fma_f64 v[32:33], s[16:17], v[114:115], v[30:31]
	v_add_f64 v[36:37], v[36:37], v[68:69]
	v_mul_f64 v[122:123], v[20:21], s[30:31]
	v_fma_f64 v[132:133], v[8:9], s[18:19], -v[130:131]
	v_add_f64 v[152:153], v[152:153], v[156:157]
	v_add_f64 v[70:71], v[32:33], v[36:37]
	v_mul_f64 v[36:37], v[18:19], s[20:21]
	v_fma_f64 v[68:69], v[6:7], s[12:13], -v[122:123]
	v_add_f64 v[132:133], v[132:133], v[152:153]
	v_fma_f64 v[32:33], v[2:3], s[16:17], -v[36:37]
	v_add_f64 v[68:69], v[68:69], v[132:133]
	v_add_f64 v[68:69], v[32:33], v[68:69]
	v_fma_f64 v[32:33], v[138:139], s[12:13], -v[34:35]
	v_fma_f64 v[34:35], v[118:119], s[18:19], -v[38:39]
	;; [unrolled: 1-line block ×5, first 2 shown]
	v_add_f64 v[120:121], v[42:43], v[120:121]
	v_add_f64 v[90:91], v[90:91], v[120:121]
	v_add_f64 v[38:39], v[38:39], v[90:91]
	v_add_f64 v[34:35], v[34:35], v[38:39]
	v_fma_f64 v[30:31], v[114:115], s[16:17], -v[30:31]
	v_add_f64 v[32:33], v[32:33], v[34:35]
	v_fmac_f64_e32 v[158:159], s[8:9], v[14:15]
	v_add_f64 v[32:33], v[30:31], v[32:33]
	v_fmac_f64_e32 v[154:155], s[26:27], v[12:13]
	v_add_f64 v[30:31], v[40:41], v[158:159]
	v_mul_f64 v[152:153], v[16:17], s[30:31]
	v_fmac_f64_e32 v[134:135], s[10:11], v[10:11]
	v_add_f64 v[30:31], v[154:155], v[30:31]
	v_mul_f64 v[132:133], v[4:5], s[14:15]
	v_fma_f64 v[154:155], s[12:13], v[0:1], v[152:153]
	v_mul_f64 v[166:167], v[28:29], s[30:31]
	v_fmac_f64_e32 v[130:131], s[18:19], v[8:9]
	v_add_f64 v[30:31], v[134:135], v[30:31]
	v_mul_f64 v[126:127], v[150:151], s[28:29]
	v_fma_f64 v[134:135], s[10:11], v[124:125], v[132:133]
	v_add_f64 v[154:155], v[42:43], v[154:155]
	v_mul_f64 v[162:163], v[26:27], s[14:15]
	v_fma_f64 v[168:169], v[14:15], s[12:13], -v[166:167]
	v_fmac_f64_e32 v[122:123], s[12:13], v[6:7]
	v_add_f64 v[30:31], v[130:131], v[30:31]
	v_mul_f64 v[120:121], v[148:149], s[38:39]
	v_fma_f64 v[130:131], s[26:27], v[128:129], v[126:127]
	v_add_f64 v[134:135], v[134:135], v[154:155]
	v_mul_f64 v[158:159], v[24:25], s[28:29]
	v_fma_f64 v[164:165], v[12:13], s[10:11], -v[162:163]
	v_add_f64 v[168:169], v[40:41], v[168:169]
	v_fmac_f64_e32 v[36:37], s[16:17], v[2:3]
	v_add_f64 v[30:31], v[122:123], v[30:31]
	v_mul_f64 v[90:91], v[146:147], s[22:23]
	v_fma_f64 v[122:123], s[16:17], v[118:119], v[120:121]
	v_add_f64 v[130:131], v[130:131], v[134:135]
	v_mul_f64 v[154:155], v[22:23], s[38:39]
	v_fma_f64 v[160:161], v[10:11], s[26:27], -v[158:159]
	v_add_f64 v[164:165], v[164:165], v[168:169]
	v_add_f64 v[30:31], v[36:37], v[30:31]
	v_mul_f64 v[38:39], v[144:145], s[24:25]
	v_fma_f64 v[36:37], s[8:9], v[138:139], v[90:91]
	v_add_f64 v[122:123], v[122:123], v[130:131]
	v_mul_f64 v[134:135], v[20:21], s[22:23]
	v_fma_f64 v[156:157], v[8:9], s[16:17], -v[154:155]
	v_add_f64 v[160:161], v[160:161], v[164:165]
	v_fma_f64 v[34:35], s[18:19], v[114:115], v[38:39]
	v_add_f64 v[36:37], v[36:37], v[122:123]
	v_mul_f64 v[130:131], v[18:19], s[24:25]
	v_fma_f64 v[122:123], v[6:7], s[8:9], -v[134:135]
	v_add_f64 v[156:157], v[156:157], v[160:161]
	v_add_f64 v[36:37], v[34:35], v[36:37]
	v_fma_f64 v[34:35], v[2:3], s[18:19], -v[130:131]
	v_add_f64 v[122:123], v[122:123], v[156:157]
	v_add_f64 v[34:35], v[34:35], v[122:123]
	v_fma_f64 v[122:123], v[128:129], s[26:27], -v[126:127]
	v_fma_f64 v[126:127], v[124:125], s[10:11], -v[132:133]
	;; [unrolled: 1-line block ×3, first 2 shown]
	v_add_f64 v[132:133], v[42:43], v[132:133]
	v_add_f64 v[126:127], v[126:127], v[132:133]
	v_fma_f64 v[120:121], v[118:119], s[16:17], -v[120:121]
	v_add_f64 v[122:123], v[122:123], v[126:127]
	v_fma_f64 v[90:91], v[138:139], s[8:9], -v[90:91]
	;; [unrolled: 2-line block ×3, first 2 shown]
	v_add_f64 v[90:91], v[90:91], v[120:121]
	v_fmac_f64_e32 v[166:167], s[12:13], v[14:15]
	v_add_f64 v[122:123], v[38:39], v[90:91]
	v_fmac_f64_e32 v[162:163], s[10:11], v[12:13]
	;; [unrolled: 2-line block ×5, first 2 shown]
	v_add_f64 v[38:39], v[154:155], v[38:39]
	s_mov_b32 s25, 0xbfddbe06
	v_fmac_f64_e32 v[130:131], s[18:19], v[2:3]
	v_add_f64 v[38:39], v[134:135], v[38:39]
	v_mul_f64 v[16:17], v[16:17], s[24:25]
	v_add_f64 v[120:121], v[130:131], v[38:39]
	v_mul_f64 v[38:39], v[144:145], s[28:29]
	v_mul_f64 v[144:145], v[150:151], s[36:37]
	;; [unrolled: 1-line block ×3, first 2 shown]
	v_fma_f64 v[150:151], s[18:19], v[0:1], v[16:17]
	v_mul_f64 v[134:135], v[148:149], s[14:15]
	v_fma_f64 v[148:149], s[12:13], v[124:125], v[4:5]
	v_add_f64 v[150:151], v[42:43], v[150:151]
	v_mul_f64 v[28:29], v[28:29], s[24:25]
	v_mul_f64 v[126:127], v[146:147], s[20:21]
	v_fma_f64 v[146:147], s[8:9], v[128:129], v[144:145]
	v_add_f64 v[148:149], v[148:149], v[150:151]
	v_mul_f64 v[26:27], v[26:27], s[30:31]
	v_fma_f64 v[152:153], v[14:15], s[18:19], -v[28:29]
	v_fma_f64 v[132:133], s[10:11], v[118:119], v[134:135]
	v_add_f64 v[146:147], v[146:147], v[148:149]
	v_mul_f64 v[24:25], v[24:25], s[36:37]
	v_fma_f64 v[150:151], v[12:13], s[12:13], -v[26:27]
	v_add_f64 v[152:153], v[40:41], v[152:153]
	v_fma_f64 v[130:131], s[16:17], v[138:139], v[126:127]
	v_add_f64 v[132:133], v[132:133], v[146:147]
	v_mul_f64 v[22:23], v[22:23], s[14:15]
	v_fma_f64 v[148:149], v[10:11], s[8:9], -v[24:25]
	v_add_f64 v[150:151], v[150:151], v[152:153]
	v_fma_f64 v[0:1], v[0:1], s[18:19], -v[16:17]
	v_fma_f64 v[90:91], s[26:27], v[114:115], v[38:39]
	v_add_f64 v[130:131], v[130:131], v[132:133]
	v_mul_f64 v[20:21], v[20:21], s[20:21]
	v_fma_f64 v[146:147], v[8:9], s[10:11], -v[22:23]
	v_add_f64 v[148:149], v[148:149], v[150:151]
	v_fma_f64 v[4:5], v[124:125], s[12:13], -v[4:5]
	v_add_f64 v[0:1], v[42:43], v[0:1]
	v_add_f64 v[132:133], v[90:91], v[130:131]
	v_mul_f64 v[18:19], v[18:19], s[28:29]
	v_fma_f64 v[130:131], v[6:7], s[16:17], -v[20:21]
	v_add_f64 v[146:147], v[146:147], v[148:149]
	v_fma_f64 v[38:39], v[114:115], s[26:27], -v[38:39]
	v_fma_f64 v[114:115], v[118:119], s[10:11], -v[134:135]
	;; [unrolled: 1-line block ×3, first 2 shown]
	v_add_f64 v[0:1], v[4:5], v[0:1]
	v_fma_f64 v[90:91], v[2:3], s[26:27], -v[18:19]
	v_add_f64 v[130:131], v[130:131], v[146:147]
	v_add_f64 v[0:1], v[118:119], v[0:1]
	;; [unrolled: 1-line block ×3, first 2 shown]
	v_fma_f64 v[90:91], v[138:139], s[16:17], -v[126:127]
	v_add_f64 v[0:1], v[114:115], v[0:1]
	v_add_f64 v[0:1], v[90:91], v[0:1]
	v_fmac_f64_e32 v[28:29], s[18:19], v[14:15]
	v_add_f64 v[4:5], v[38:39], v[0:1]
	v_fmac_f64_e32 v[26:27], s[12:13], v[12:13]
	;; [unrolled: 2-line block ×6, first 2 shown]
	v_add_f64 v[0:1], v[20:21], v[0:1]
	v_add_f64 v[2:3], v[18:19], v[0:1]
	;; [unrolled: 1-line block ×26, first 2 shown]
	v_lshl_add_u32 v0, v206, 4, v207
	ds_write_b128 v173, v[6:9]
	ds_write_b128 v0, v[2:5] offset:800
	ds_write_b128 v0, v[120:123] offset:1600
	;; [unrolled: 1-line block ×12, first 2 shown]
.LBB0_9:
	s_or_b64 exec, exec, s[0:1]
	s_waitcnt lgkmcnt(0)
	s_barrier
	ds_read_b128 v[0:3], v173
	v_mad_u64_u32 v[14:15], s[0:1], s6, v172, 0
	v_mov_b32_e32 v4, v15
	v_accvgpr_read_b32 v16, a28
	v_mad_u64_u32 v[4:5], s[0:1], s7, v172, v[4:5]
	v_accvgpr_read_b32 v18, a30
	v_accvgpr_read_b32 v19, a31
	v_mov_b32_e32 v15, v4
	ds_read_b128 v[4:7], v173 offset:1040
	v_accvgpr_read_b32 v17, a29
	s_waitcnt lgkmcnt(1)
	v_mul_f64 v[8:9], v[18:19], v[2:3]
	v_fmac_f64_e32 v[8:9], v[16:17], v[0:1]
	s_mov_b32 s0, 0x7f9b2ce6
	v_mul_f64 v[0:1], v[18:19], v[0:1]
	s_mov_b32 s1, 0x3f5934c6
	v_fma_f64 v[0:1], v[16:17], v[2:3], -v[0:1]
	v_mov_b32_e32 v12, s2
	v_mov_b32_e32 v13, s3
	v_mul_f64 v[10:11], v[0:1], s[0:1]
	v_mad_u64_u32 v[0:1], s[2:3], s4, v206, 0
	v_mov_b32_e32 v2, v1
	v_mad_u64_u32 v[2:3], s[2:3], s5, v206, v[2:3]
	v_mov_b32_e32 v1, v2
	v_lshl_add_u64 v[2:3], v[14:15], 4, v[12:13]
	v_lshl_add_u64 v[12:13], v[0:1], 4, v[2:3]
	s_waitcnt lgkmcnt(0)
	v_mul_f64 v[0:1], v[240:241], v[6:7]
	v_mul_f64 v[2:3], v[240:241], v[4:5]
	v_fmac_f64_e32 v[0:1], v[238:239], v[4:5]
	v_fma_f64 v[2:3], v[238:239], v[6:7], -v[2:3]
	ds_read_b128 v[4:7], v173 offset:2080
	v_mul_f64 v[8:9], v[8:9], s[0:1]
	v_mov_b32_e32 v14, 0x410
	global_store_dwordx4 v[12:13], v[8:11], off
	v_mad_u64_u32 v[12:13], s[2:3], s4, v14, v[12:13]
	s_mul_i32 s2, s5, 0x410
	v_accvgpr_read_b32 v16, a24
	v_mul_f64 v[0:1], v[0:1], s[0:1]
	v_mul_f64 v[2:3], v[2:3], s[0:1]
	v_add_u32_e32 v13, s2, v13
	v_accvgpr_read_b32 v18, a26
	v_accvgpr_read_b32 v19, a27
	global_store_dwordx4 v[12:13], v[0:3], off
	ds_read_b128 v[0:3], v173 offset:3120
	v_accvgpr_read_b32 v17, a25
	s_waitcnt lgkmcnt(1)
	v_mul_f64 v[8:9], v[18:19], v[6:7]
	v_fmac_f64_e32 v[8:9], v[16:17], v[4:5]
	v_mul_f64 v[4:5], v[18:19], v[4:5]
	v_fma_f64 v[4:5], v[16:17], v[6:7], -v[4:5]
	v_mad_u64_u32 v[12:13], s[6:7], s4, v14, v[12:13]
	v_mul_f64 v[8:9], v[8:9], s[0:1]
	v_mul_f64 v[10:11], v[4:5], s[0:1]
	v_add_u32_e32 v13, s2, v13
	global_store_dwordx4 v[12:13], v[8:11], off
	v_accvgpr_read_b32 v6, a8
	v_accvgpr_read_b32 v7, a9
	;; [unrolled: 1-line block ×4, first 2 shown]
	s_waitcnt lgkmcnt(0)
	v_mul_f64 v[4:5], v[8:9], v[2:3]
	v_fmac_f64_e32 v[4:5], v[6:7], v[0:1]
	v_mul_f64 v[0:1], v[8:9], v[0:1]
	v_fma_f64 v[0:1], v[6:7], v[2:3], -v[0:1]
	v_mul_f64 v[6:7], v[0:1], s[0:1]
	ds_read_b128 v[0:3], v173 offset:4160
	v_mad_u64_u32 v[12:13], s[6:7], s4, v14, v[12:13]
	v_accvgpr_read_b32 v16, a36
	v_mul_f64 v[4:5], v[4:5], s[0:1]
	v_add_u32_e32 v13, s2, v13
	v_accvgpr_read_b32 v18, a38
	v_accvgpr_read_b32 v19, a39
	global_store_dwordx4 v[12:13], v[4:7], off
	ds_read_b128 v[4:7], v173 offset:5200
	v_accvgpr_read_b32 v17, a37
	s_waitcnt lgkmcnt(1)
	v_mul_f64 v[8:9], v[18:19], v[2:3]
	v_fmac_f64_e32 v[8:9], v[16:17], v[0:1]
	v_mul_f64 v[0:1], v[18:19], v[0:1]
	v_fma_f64 v[0:1], v[16:17], v[2:3], -v[0:1]
	v_mad_u64_u32 v[12:13], s[6:7], s4, v14, v[12:13]
	v_mul_f64 v[8:9], v[8:9], s[0:1]
	v_mul_f64 v[10:11], v[0:1], s[0:1]
	v_add_u32_e32 v13, s2, v13
	global_store_dwordx4 v[12:13], v[8:11], off
	v_mad_u64_u32 v[12:13], s[6:7], s4, v14, v[12:13]
	s_nop 0
	v_accvgpr_read_b32 v8, a16
	v_accvgpr_read_b32 v10, a18
	;; [unrolled: 1-line block ×4, first 2 shown]
	s_waitcnt lgkmcnt(0)
	v_mul_f64 v[0:1], v[10:11], v[6:7]
	v_mul_f64 v[2:3], v[10:11], v[4:5]
	v_fmac_f64_e32 v[0:1], v[8:9], v[4:5]
	v_fma_f64 v[2:3], v[8:9], v[6:7], -v[2:3]
	ds_read_b128 v[4:7], v173 offset:6240
	v_accvgpr_read_b32 v16, a32
	v_mul_f64 v[0:1], v[0:1], s[0:1]
	v_mul_f64 v[2:3], v[2:3], s[0:1]
	v_add_u32_e32 v13, s2, v13
	v_accvgpr_read_b32 v18, a34
	v_accvgpr_read_b32 v19, a35
	global_store_dwordx4 v[12:13], v[0:3], off
	ds_read_b128 v[0:3], v173 offset:7280
	v_accvgpr_read_b32 v17, a33
	s_waitcnt lgkmcnt(1)
	v_mul_f64 v[8:9], v[18:19], v[6:7]
	v_fmac_f64_e32 v[8:9], v[16:17], v[4:5]
	v_mul_f64 v[4:5], v[18:19], v[4:5]
	v_fma_f64 v[4:5], v[16:17], v[6:7], -v[4:5]
	v_mad_u64_u32 v[12:13], s[6:7], s4, v14, v[12:13]
	v_mul_f64 v[8:9], v[8:9], s[0:1]
	v_mul_f64 v[10:11], v[4:5], s[0:1]
	v_add_u32_e32 v13, s2, v13
	global_store_dwordx4 v[12:13], v[8:11], off
	v_accvgpr_read_b32 v6, a12
	v_accvgpr_read_b32 v7, a13
	;; [unrolled: 1-line block ×4, first 2 shown]
	s_waitcnt lgkmcnt(0)
	v_mul_f64 v[4:5], v[8:9], v[2:3]
	v_fmac_f64_e32 v[4:5], v[6:7], v[0:1]
	v_mul_f64 v[0:1], v[8:9], v[0:1]
	v_fma_f64 v[0:1], v[6:7], v[2:3], -v[0:1]
	v_mul_f64 v[6:7], v[0:1], s[0:1]
	ds_read_b128 v[0:3], v173 offset:8320
	v_mad_u64_u32 v[12:13], s[6:7], s4, v14, v[12:13]
	v_mul_f64 v[4:5], v[4:5], s[0:1]
	v_add_u32_e32 v13, s2, v13
	global_store_dwordx4 v[12:13], v[4:7], off
	ds_read_b128 v[4:7], v173 offset:9360
	s_waitcnt lgkmcnt(1)
	v_mul_f64 v[8:9], v[210:211], v[2:3]
	v_fmac_f64_e32 v[8:9], v[208:209], v[0:1]
	v_mul_f64 v[0:1], v[210:211], v[0:1]
	v_fma_f64 v[0:1], v[208:209], v[2:3], -v[0:1]
	v_mad_u64_u32 v[12:13], s[6:7], s4, v14, v[12:13]
	v_mul_f64 v[8:9], v[8:9], s[0:1]
	v_mul_f64 v[10:11], v[0:1], s[0:1]
	v_add_u32_e32 v13, s2, v13
	global_store_dwordx4 v[12:13], v[8:11], off
	s_nop 1
	v_accvgpr_read_b32 v8, a20
	v_accvgpr_read_b32 v10, a22
	;; [unrolled: 1-line block ×4, first 2 shown]
	s_waitcnt lgkmcnt(0)
	v_mul_f64 v[0:1], v[10:11], v[6:7]
	v_mul_f64 v[2:3], v[10:11], v[4:5]
	v_fmac_f64_e32 v[0:1], v[8:9], v[4:5]
	v_fma_f64 v[2:3], v[8:9], v[6:7], -v[2:3]
	v_mul_f64 v[0:1], v[0:1], s[0:1]
	v_mul_f64 v[2:3], v[2:3], s[0:1]
	v_mad_u64_u32 v[4:5], s[0:1], s4, v14, v[12:13]
	v_add_u32_e32 v5, s2, v5
	global_store_dwordx4 v[4:5], v[0:3], off
.LBB0_10:
	s_endpgm
	.section	.rodata,"a",@progbits
	.p2align	6, 0x0
	.amdhsa_kernel bluestein_single_fwd_len650_dim1_dp_op_CI_CI
		.amdhsa_group_segment_fixed_size 31200
		.amdhsa_private_segment_fixed_size 0
		.amdhsa_kernarg_size 104
		.amdhsa_user_sgpr_count 2
		.amdhsa_user_sgpr_dispatch_ptr 0
		.amdhsa_user_sgpr_queue_ptr 0
		.amdhsa_user_sgpr_kernarg_segment_ptr 1
		.amdhsa_user_sgpr_dispatch_id 0
		.amdhsa_user_sgpr_kernarg_preload_length 0
		.amdhsa_user_sgpr_kernarg_preload_offset 0
		.amdhsa_user_sgpr_private_segment_size 0
		.amdhsa_uses_dynamic_stack 0
		.amdhsa_enable_private_segment 0
		.amdhsa_system_sgpr_workgroup_id_x 1
		.amdhsa_system_sgpr_workgroup_id_y 0
		.amdhsa_system_sgpr_workgroup_id_z 0
		.amdhsa_system_sgpr_workgroup_info 0
		.amdhsa_system_vgpr_workitem_id 0
		.amdhsa_next_free_vgpr 378
		.amdhsa_next_free_sgpr 48
		.amdhsa_accum_offset 256
		.amdhsa_reserve_vcc 1
		.amdhsa_float_round_mode_32 0
		.amdhsa_float_round_mode_16_64 0
		.amdhsa_float_denorm_mode_32 3
		.amdhsa_float_denorm_mode_16_64 3
		.amdhsa_dx10_clamp 1
		.amdhsa_ieee_mode 1
		.amdhsa_fp16_overflow 0
		.amdhsa_tg_split 0
		.amdhsa_exception_fp_ieee_invalid_op 0
		.amdhsa_exception_fp_denorm_src 0
		.amdhsa_exception_fp_ieee_div_zero 0
		.amdhsa_exception_fp_ieee_overflow 0
		.amdhsa_exception_fp_ieee_underflow 0
		.amdhsa_exception_fp_ieee_inexact 0
		.amdhsa_exception_int_div_zero 0
	.end_amdhsa_kernel
	.text
.Lfunc_end0:
	.size	bluestein_single_fwd_len650_dim1_dp_op_CI_CI, .Lfunc_end0-bluestein_single_fwd_len650_dim1_dp_op_CI_CI
                                        ; -- End function
	.section	.AMDGPU.csdata,"",@progbits
; Kernel info:
; codeLenInByte = 17960
; NumSgprs: 54
; NumVgprs: 256
; NumAgprs: 122
; TotalNumVgprs: 378
; ScratchSize: 0
; MemoryBound: 0
; FloatMode: 240
; IeeeMode: 1
; LDSByteSize: 31200 bytes/workgroup (compile time only)
; SGPRBlocks: 6
; VGPRBlocks: 47
; NumSGPRsForWavesPerEU: 54
; NumVGPRsForWavesPerEU: 378
; AccumOffset: 256
; Occupancy: 1
; WaveLimiterHint : 1
; COMPUTE_PGM_RSRC2:SCRATCH_EN: 0
; COMPUTE_PGM_RSRC2:USER_SGPR: 2
; COMPUTE_PGM_RSRC2:TRAP_HANDLER: 0
; COMPUTE_PGM_RSRC2:TGID_X_EN: 1
; COMPUTE_PGM_RSRC2:TGID_Y_EN: 0
; COMPUTE_PGM_RSRC2:TGID_Z_EN: 0
; COMPUTE_PGM_RSRC2:TIDIG_COMP_CNT: 0
; COMPUTE_PGM_RSRC3_GFX90A:ACCUM_OFFSET: 63
; COMPUTE_PGM_RSRC3_GFX90A:TG_SPLIT: 0
	.text
	.p2alignl 6, 3212836864
	.fill 256, 4, 3212836864
	.type	__hip_cuid_47b393d99373b9de,@object ; @__hip_cuid_47b393d99373b9de
	.section	.bss,"aw",@nobits
	.globl	__hip_cuid_47b393d99373b9de
__hip_cuid_47b393d99373b9de:
	.byte	0                               ; 0x0
	.size	__hip_cuid_47b393d99373b9de, 1

	.ident	"AMD clang version 19.0.0git (https://github.com/RadeonOpenCompute/llvm-project roc-6.4.0 25133 c7fe45cf4b819c5991fe208aaa96edf142730f1d)"
	.section	".note.GNU-stack","",@progbits
	.addrsig
	.addrsig_sym __hip_cuid_47b393d99373b9de
	.amdgpu_metadata
---
amdhsa.kernels:
  - .agpr_count:     122
    .args:
      - .actual_access:  read_only
        .address_space:  global
        .offset:         0
        .size:           8
        .value_kind:     global_buffer
      - .actual_access:  read_only
        .address_space:  global
        .offset:         8
        .size:           8
        .value_kind:     global_buffer
      - .actual_access:  read_only
        .address_space:  global
        .offset:         16
        .size:           8
        .value_kind:     global_buffer
      - .actual_access:  read_only
        .address_space:  global
        .offset:         24
        .size:           8
        .value_kind:     global_buffer
      - .actual_access:  read_only
        .address_space:  global
        .offset:         32
        .size:           8
        .value_kind:     global_buffer
      - .offset:         40
        .size:           8
        .value_kind:     by_value
      - .address_space:  global
        .offset:         48
        .size:           8
        .value_kind:     global_buffer
      - .address_space:  global
        .offset:         56
        .size:           8
        .value_kind:     global_buffer
      - .address_space:  global
        .offset:         64
        .size:           8
        .value_kind:     global_buffer
      - .address_space:  global
        .offset:         72
        .size:           8
        .value_kind:     global_buffer
      - .offset:         80
        .size:           4
        .value_kind:     by_value
      - .address_space:  global
        .offset:         88
        .size:           8
        .value_kind:     global_buffer
      - .address_space:  global
        .offset:         96
        .size:           8
        .value_kind:     global_buffer
    .group_segment_fixed_size: 31200
    .kernarg_segment_align: 8
    .kernarg_segment_size: 104
    .language:       OpenCL C
    .language_version:
      - 2
      - 0
    .max_flat_workgroup_size: 195
    .name:           bluestein_single_fwd_len650_dim1_dp_op_CI_CI
    .private_segment_fixed_size: 0
    .sgpr_count:     54
    .sgpr_spill_count: 0
    .symbol:         bluestein_single_fwd_len650_dim1_dp_op_CI_CI.kd
    .uniform_work_group_size: 1
    .uses_dynamic_stack: false
    .vgpr_count:     378
    .vgpr_spill_count: 0
    .wavefront_size: 64
amdhsa.target:   amdgcn-amd-amdhsa--gfx950
amdhsa.version:
  - 1
  - 2
...

	.end_amdgpu_metadata
